;; amdgpu-corpus repo=ROCm/rocFFT kind=compiled arch=gfx1030 opt=O3
	.text
	.amdgcn_target "amdgcn-amd-amdhsa--gfx1030"
	.amdhsa_code_object_version 6
	.protected	bluestein_single_back_len432_dim1_sp_op_CI_CI ; -- Begin function bluestein_single_back_len432_dim1_sp_op_CI_CI
	.globl	bluestein_single_back_len432_dim1_sp_op_CI_CI
	.p2align	8
	.type	bluestein_single_back_len432_dim1_sp_op_CI_CI,@function
bluestein_single_back_len432_dim1_sp_op_CI_CI: ; @bluestein_single_back_len432_dim1_sp_op_CI_CI
; %bb.0:
	s_load_dwordx4 s[8:11], s[4:5], 0x28
	v_mul_u32_u24_e32 v1, 0x97c, v0
	v_mov_b32_e32 v125, 0
	s_mov_b32 s0, exec_lo
	v_lshrrev_b32_e32 v2, 16, v1
	v_lshl_add_u32 v124, s6, 1, v2
	s_waitcnt lgkmcnt(0)
	v_cmpx_gt_u64_e64 s[8:9], v[124:125]
	s_cbranch_execz .LBB0_31
; %bb.1:
	s_clause 0x1
	s_load_dwordx4 s[0:3], s[4:5], 0x18
	s_load_dwordx2 s[16:17], s[4:5], 0x0
	v_mul_lo_u16 v1, v2, 27
	v_sub_nc_u16 v39, v0, v1
	v_and_b32_e32 v154, 0xffff, v39
	v_lshlrev_b32_e32 v165, 3, v154
	v_or_b32_e32 v155, 0x120, v154
	s_waitcnt lgkmcnt(0)
	s_load_dwordx4 s[12:15], s[0:1], 0x0
	s_clause 0x6
	global_load_dwordx2 v[133:134], v165, s[16:17] offset:1368
	global_load_dwordx2 v[127:128], v165, s[16:17] offset:1584
	global_load_dwordx2 v[147:148], v165, s[16:17]
	global_load_dwordx2 v[139:140], v165, s[16:17] offset:216
	global_load_dwordx2 v[135:136], v165, s[16:17] offset:432
	;; [unrolled: 1-line block ×4, first 2 shown]
	v_add_co_u32 v114, s0, s16, v165
	v_add_co_ci_u32_e64 v115, null, s17, 0, s0
	v_lshlrev_b32_e32 v157, 3, v155
	v_add_co_u32 v116, vcc_lo, 0x800, v114
	v_add_co_ci_u32_e32 v117, vcc_lo, 0, v115, vcc_lo
	s_clause 0x5
	global_load_dwordx2 v[143:144], v165, s[16:17] offset:1152
	global_load_dwordx2 v[120:121], v165, s[16:17] offset:864
	global_load_dwordx2 v[145:146], v157, s[16:17]
	global_load_dwordx2 v[141:142], v[116:117], off offset:472
	global_load_dwordx2 v[137:138], v[116:117], off offset:688
	;; [unrolled: 1-line block ×3, first 2 shown]
	s_waitcnt lgkmcnt(0)
	v_mad_u64_u32 v[0:1], null, s14, v124, 0
	v_mad_u64_u32 v[3:4], null, s12, v154, 0
	s_mul_i32 s1, s13, 0x90
	s_mul_hi_u32 s6, s12, 0x90
	s_mul_i32 s0, s12, 0x90
	s_add_i32 s1, s6, s1
	v_mad_u64_u32 v[5:6], null, s15, v124, v[1:2]
	v_mad_u64_u32 v[6:7], null, s12, v155, 0
	s_lshl_b64 s[14:15], s[0:1], 3
	s_mul_i32 s7, s13, 0xfffffc58
	s_mul_hi_u32 s9, s12, 0xfffffefb
	s_sub_i32 s6, s7, s12
	v_mad_u64_u32 v[8:9], null, s13, v154, v[4:5]
	v_mov_b32_e32 v1, v5
	v_mov_b32_e32 v5, v7
	s_mul_i32 s8, s13, 0xfffffefb
	s_sub_i32 s1, s9, s12
	s_mul_i32 s0, s12, 0xfffffefb
	v_lshlrev_b64 v[0:1], 3, v[0:1]
	v_mov_b32_e32 v4, v8
	v_mad_u64_u32 v[7:8], null, s13, v155, v[5:6]
	s_add_i32 s1, s1, s8
	v_and_b32_e32 v2, 1, v2
	v_lshlrev_b64 v[3:4], 3, v[3:4]
	v_add_co_u32 v9, vcc_lo, s10, v0
	v_add_co_ci_u32_e32 v10, vcc_lo, s11, v1, vcc_lo
	v_lshlrev_b64 v[5:6], 3, v[6:7]
	v_add_co_u32 v0, vcc_lo, v9, v3
	v_add_co_ci_u32_e32 v1, vcc_lo, v10, v4, vcc_lo
	s_lshl_b64 s[0:1], s[0:1], 3
	v_add_co_u32 v3, vcc_lo, v0, s14
	v_add_co_ci_u32_e32 v4, vcc_lo, s15, v1, vcc_lo
	v_add_co_u32 v5, vcc_lo, v9, v5
	v_add_co_ci_u32_e32 v6, vcc_lo, v10, v6, vcc_lo
	v_mad_u64_u32 v[7:8], null, 0xfffffc58, s12, v[3:4]
	s_clause 0x2
	global_load_dwordx2 v[9:10], v[0:1], off
	global_load_dwordx2 v[3:4], v[3:4], off
	global_load_dwordx2 v[5:6], v[5:6], off
	v_add_nc_u32_e32 v8, s6, v8
	v_add_co_u32 v0, vcc_lo, v7, s14
	s_load_dwordx2 s[6:7], s[4:5], 0x38
	v_add_co_ci_u32_e32 v1, vcc_lo, s15, v8, vcc_lo
	v_add_co_u32 v11, vcc_lo, v0, s14
	global_load_dwordx2 v[13:14], v[7:8], off
	v_add_co_ci_u32_e32 v12, vcc_lo, s15, v1, vcc_lo
	v_add_co_u32 v7, vcc_lo, v11, s0
	v_add_co_ci_u32_e32 v8, vcc_lo, s1, v12, vcc_lo
	s_clause 0x1
	global_load_dwordx2 v[15:16], v[0:1], off
	global_load_dwordx2 v[11:12], v[11:12], off
	v_add_co_u32 v0, vcc_lo, v7, s14
	v_add_co_ci_u32_e32 v1, vcc_lo, s15, v8, vcc_lo
	global_load_dwordx2 v[17:18], v[7:8], off
	v_add_co_u32 v7, vcc_lo, v0, s14
	v_add_co_ci_u32_e32 v8, vcc_lo, s15, v1, vcc_lo
	;; [unrolled: 3-line block ×8, first 2 shown]
	global_load_dwordx2 v[129:130], v165, s[16:17] offset:2016
	global_load_dwordx2 v[29:30], v[29:30], off
	global_load_dwordx2 v[131:132], v[116:117], off offset:1120
	global_load_dwordx2 v[33:34], v[0:1], off
	v_cmp_eq_u32_e32 vcc_lo, 1, v2
	s_load_dwordx4 s[8:11], s[2:3], 0x0
	v_cndmask_b32_e64 v171, 0, 0x1b0, vcc_lo
	v_cmp_gt_u16_e32 vcc_lo, 9, v39
	v_lshlrev_b32_e32 v156, 3, v171
	v_add_nc_u32_e32 v153, v156, v165
	v_add_nc_u32_e32 v8, 0x800, v153
	s_waitcnt vmcnt(16)
	v_mul_f32_e32 v2, v10, v148
	s_waitcnt vmcnt(15)
	v_mul_f32_e32 v36, v3, v144
	;; [unrolled: 2-line block ×3, first 2 shown]
	v_mul_f32_e32 v7, v9, v148
	v_mul_f32_e32 v35, v4, v144
	;; [unrolled: 1-line block ×3, first 2 shown]
	v_fma_f32 v36, v4, v143, -v36
	v_fmac_f32_e32 v37, v5, v145
	v_fmac_f32_e32 v2, v9, v147
	;; [unrolled: 1-line block ×3, first 2 shown]
	v_fma_f32 v3, v10, v147, -v7
	v_fma_f32 v38, v6, v145, -v38
	ds_write_b64 v153, v[35:36] offset:1152
	ds_write_b64 v153, v[37:38] offset:2304
	s_waitcnt vmcnt(13)
	v_mul_f32_e32 v4, v14, v140
	v_mul_f32_e32 v5, v13, v140
	v_fmac_f32_e32 v4, v13, v139
	v_fma_f32 v5, v14, v139, -v5
	s_waitcnt vmcnt(11)
	v_mul_f32_e32 v9, v12, v142
	v_mul_f32_e32 v10, v11, v142
	;; [unrolled: 1-line block ×4, first 2 shown]
	ds_write2_b64 v153, v[2:3], v[4:5] offset1:27
	v_fmac_f32_e32 v9, v11, v141
	v_fma_f32 v10, v12, v141, -v10
	v_fmac_f32_e32 v6, v15, v133
	v_fma_f32 v7, v16, v133, -v7
	s_waitcnt vmcnt(10)
	v_mul_f32_e32 v2, v18, v136
	s_waitcnt vmcnt(9)
	v_mul_f32_e32 v4, v20, v128
	v_mul_f32_e32 v5, v19, v128
	;; [unrolled: 1-line block ×3, first 2 shown]
	v_fmac_f32_e32 v2, v17, v135
	s_waitcnt vmcnt(8)
	v_mul_f32_e32 v11, v22, v138
	v_mul_f32_e32 v12, v21, v138
	v_fmac_f32_e32 v4, v19, v127
	v_fma_f32 v5, v20, v127, -v5
	v_fma_f32 v3, v18, v135, -v3
	v_fmac_f32_e32 v11, v21, v137
	v_fma_f32 v12, v22, v137, -v12
	s_waitcnt vmcnt(7)
	v_mul_f32_e32 v13, v24, v126
	v_mul_f32_e32 v14, v23, v126
	ds_write2_b64 v153, v[6:7], v[4:5] offset0:171 offset1:198
	ds_write2_b64 v8, v[9:10], v[11:12] offset0:59 offset1:86
	s_waitcnt vmcnt(6)
	v_mul_f32_e32 v4, v26, v119
	v_mul_f32_e32 v5, v25, v119
	v_fmac_f32_e32 v13, v23, v125
	v_fma_f32 v14, v24, v125, -v14
	s_waitcnt vmcnt(5)
	v_mul_f32_e32 v6, v28, v123
	v_mul_f32_e32 v7, v27, v123
	v_fmac_f32_e32 v4, v25, v118
	v_fma_f32 v5, v26, v118, -v5
	s_waitcnt vmcnt(4)
	v_mul_f32_e32 v9, v32, v121
	v_mul_f32_e32 v10, v31, v121
	v_fmac_f32_e32 v6, v27, v122
	s_waitcnt vmcnt(2)
	v_mul_f32_e32 v11, v30, v130
	v_mul_f32_e32 v12, v29, v130
	s_waitcnt vmcnt(0)
	v_mul_f32_e32 v15, v34, v132
	v_mul_f32_e32 v16, v33, v132
	v_fmac_f32_e32 v9, v31, v120
	v_fma_f32 v10, v32, v120, -v10
	v_fmac_f32_e32 v11, v29, v129
	v_fma_f32 v12, v30, v129, -v12
	v_fma_f32 v7, v28, v122, -v7
	v_fmac_f32_e32 v15, v33, v131
	v_fma_f32 v16, v34, v131, -v16
	ds_write2_b64 v153, v[2:3], v[13:14] offset0:54 offset1:81
	ds_write_b64 v153, v[9:10] offset:864
	ds_write2_b64 v153, v[4:5], v[11:12] offset0:225 offset1:252
	ds_write2_b64 v8, v[6:7], v[15:16] offset0:113 offset1:140
	s_and_saveexec_b32 s2, vcc_lo
	s_cbranch_execz .LBB0_3
; %bb.2:
	v_add_co_u32 v0, s0, v0, s0
	v_add_co_ci_u32_e64 v1, s0, s1, v1, s0
	global_load_dwordx2 v[4:5], v[114:115], off offset:1080
	v_add_nc_u32_e32 v15, 0x400, v153
	global_load_dwordx2 v[2:3], v[0:1], off
	v_add_co_u32 v0, s0, v0, s14
	v_add_co_ci_u32_e64 v1, s0, s15, v1, s0
	v_add_co_u32 v6, s0, v0, s14
	v_add_co_ci_u32_e64 v7, s0, s15, v1, s0
	global_load_dwordx2 v[0:1], v[0:1], off
	s_clause 0x1
	global_load_dwordx2 v[9:10], v[116:117], off offset:184
	global_load_dwordx2 v[11:12], v[116:117], off offset:1336
	global_load_dwordx2 v[6:7], v[6:7], off
	s_waitcnt vmcnt(4)
	v_mul_f32_e32 v13, v3, v5
	v_mul_f32_e32 v14, v2, v5
	v_fmac_f32_e32 v13, v2, v4
	v_fma_f32 v14, v3, v4, -v14
	s_waitcnt vmcnt(2)
	v_mul_f32_e32 v2, v1, v10
	v_mul_f32_e32 v10, v0, v10
	s_waitcnt vmcnt(0)
	v_mul_f32_e32 v5, v7, v12
	v_mul_f32_e32 v12, v6, v12
	v_fmac_f32_e32 v2, v0, v9
	v_fma_f32 v3, v1, v9, -v10
	v_fmac_f32_e32 v5, v6, v11
	v_fma_f32 v6, v7, v11, -v12
	ds_write2_b64 v15, v[13:14], v[2:3] offset0:7 offset1:151
	ds_write_b64 v153, v[5:6] offset:3384
.LBB0_3:
	s_or_b32 exec_lo, exec_lo, s2
	s_waitcnt lgkmcnt(0)
	s_barrier
	buffer_gl0_inv
	ds_read2_b64 v[12:15], v153 offset1:27
	ds_read2_b64 v[0:3], v153 offset0:108 offset1:144
	ds_read2_b64 v[28:31], v8 offset0:32 offset1:59
	;; [unrolled: 1-line block ×6, first 2 shown]
	ds_read_b64 v[34:35], v153 offset:3168
                                        ; implicit-def: $vgpr8
                                        ; implicit-def: $vgpr32
	s_and_saveexec_b32 s0, vcc_lo
	s_cbranch_execz .LBB0_5
; %bb.4:
	v_add_nc_u32_e32 v8, 0x400, v153
	ds_read2_b64 v[8:11], v8 offset0:7 offset1:151
	ds_read_b64 v[32:33], v153 offset:3384
.LBB0_5:
	s_or_b32 exec_lo, exec_lo, s0
	v_add_co_u32 v177, s0, v154, 27
	v_add_co_ci_u32_e64 v40, null, 0, 0, s0
	v_add_co_u32 v175, s0, 0x51, v154
	v_add_co_ci_u32_e64 v37, null, 0, 0, s0
	s_waitcnt lgkmcnt(5)
	v_add_f32_e32 v36, v2, v28
	v_add_f32_e32 v37, v12, v2
	v_sub_f32_e32 v39, v3, v29
	v_sub_f32_e32 v2, v2, v28
	s_waitcnt lgkmcnt(0)
	v_add_f32_e32 v41, v19, v35
	v_fma_f32 v12, -0.5, v36, v12
	v_add_f32_e32 v36, v37, v28
	v_add_f32_e32 v37, v3, v29
	;; [unrolled: 1-line block ×3, first 2 shown]
	s_load_dwordx2 s[2:3], s[4:5], 0x8
	v_fmamk_f32 v38, v39, 0x3f5db3d7, v12
	v_fmac_f32_e32 v12, 0xbf5db3d7, v39
	v_add_f32_e32 v39, v24, v30
	v_fma_f32 v13, -0.5, v37, v13
	v_add_f32_e32 v37, v3, v29
	v_add_f32_e32 v3, v14, v24
	v_sub_f32_e32 v29, v25, v31
	v_fma_f32 v14, -0.5, v39, v14
	v_fmamk_f32 v39, v2, 0xbf5db3d7, v13
	v_fmac_f32_e32 v13, 0x3f5db3d7, v2
	v_add_f32_e32 v2, v3, v30
	v_add_f32_e32 v3, v25, v31
	;; [unrolled: 1-line block ×3, first 2 shown]
	v_fmamk_f32 v28, v29, 0x3f5db3d7, v14
	v_fmac_f32_e32 v14, 0xbf5db3d7, v29
	v_add_f32_e32 v29, v26, v20
	v_fmac_f32_e32 v15, -0.5, v3
	v_sub_f32_e32 v24, v24, v30
	v_add_f32_e32 v3, v25, v31
	v_add_f32_e32 v25, v4, v26
	v_fma_f32 v4, -0.5, v29, v4
	v_sub_f32_e32 v31, v27, v21
	v_fmamk_f32 v29, v24, 0xbf5db3d7, v15
	v_fmac_f32_e32 v15, 0x3f5db3d7, v24
	v_add_f32_e32 v24, v25, v20
	v_add_f32_e32 v25, v27, v21
	;; [unrolled: 1-line block ×3, first 2 shown]
	v_fmamk_f32 v30, v31, 0x3f5db3d7, v4
	v_fmac_f32_e32 v4, 0xbf5db3d7, v31
	v_add_f32_e32 v31, v16, v22
	v_fma_f32 v5, -0.5, v25, v5
	v_sub_f32_e32 v20, v26, v20
	v_add_f32_e32 v25, v27, v21
	v_add_f32_e32 v21, v6, v16
	v_fma_f32 v6, -0.5, v31, v6
	v_sub_f32_e32 v27, v17, v23
	v_fmamk_f32 v31, v20, 0xbf5db3d7, v5
	v_fmac_f32_e32 v5, 0x3f5db3d7, v20
	v_add_f32_e32 v20, v21, v22
	v_add_f32_e32 v21, v17, v23
	;; [unrolled: 1-line block ×3, first 2 shown]
	v_fmamk_f32 v26, v27, 0x3f5db3d7, v6
	v_fmac_f32_e32 v6, 0xbf5db3d7, v27
	v_add_f32_e32 v27, v18, v34
	v_fmac_f32_e32 v7, -0.5, v21
	v_sub_f32_e32 v16, v16, v22
	v_add_f32_e32 v21, v17, v23
	v_add_f32_e32 v17, v0, v18
	v_fma_f32 v0, -0.5, v27, v0
	v_sub_f32_e32 v23, v19, v35
	v_fmamk_f32 v27, v16, 0xbf5db3d7, v7
	v_fmac_f32_e32 v7, 0x3f5db3d7, v16
	v_add_f32_e32 v16, v17, v34
	v_add_f32_e32 v17, v1, v19
	v_fmac_f32_e32 v1, -0.5, v41
	v_sub_f32_e32 v18, v18, v34
	v_fmamk_f32 v22, v23, 0x3f5db3d7, v0
	v_add_f32_e32 v19, v10, v32
	v_add_f32_e32 v17, v17, v35
	v_mul_lo_u16 v35, v154, 3
	v_fmac_f32_e32 v0, 0xbf5db3d7, v23
	v_fmamk_f32 v23, v18, 0xbf5db3d7, v1
	v_fmac_f32_e32 v1, 0x3f5db3d7, v18
	v_add_co_u32 v176, null, v154, 54
	v_and_b32_e32 v18, 0xffff, v35
	v_add_co_u32 v174, null, 0x6c, v154
	v_add_f32_e32 v34, v11, v33
	v_fma_f32 v84, -0.5, v19, v8
	v_sub_f32_e32 v19, v11, v33
	v_lshl_add_u32 v159, v18, 3, v156
	v_add_co_u32 v172, s0, 0x87, v154
	v_fma_f32 v85, -0.5, v34, v9
	v_sub_f32_e32 v34, v10, v32
	v_fmamk_f32 v78, v19, 0x3f5db3d7, v84
	v_fmac_f32_e32 v84, 0xbf5db3d7, v19
	s_waitcnt lgkmcnt(0)
	v_mul_u32_u24_e32 v18, 3, v177
	s_barrier
	buffer_gl0_inv
	v_mul_u32_u24_e32 v19, 3, v176
	ds_write_b64 v159, v[12:13] offset:16
	v_mul_u32_u24_e32 v12, 3, v175
	v_mul_u32_u24_e32 v13, 3, v174
	v_add_co_ci_u32_e64 v173, null, 0, 0, s0
	v_fmamk_f32 v79, v34, 0xbf5db3d7, v85
	v_fmac_f32_e32 v85, 0x3f5db3d7, v34
	v_lshl_add_u32 v160, v18, 3, v156
	v_lshl_add_u32 v163, v19, 3, v156
	v_lshl_add_u32 v164, v12, 3, v156
	v_lshl_add_u32 v162, v13, 3, v156
	v_mul_u32_u24_e32 v161, 3, v172
	ds_write2_b64 v159, v[36:37], v[38:39] offset1:1
	ds_write2_b64 v160, v[2:3], v[28:29] offset1:1
	ds_write_b64 v160, v[14:15] offset:16
	ds_write2_b64 v163, v[24:25], v[30:31] offset1:1
	ds_write_b64 v163, v[4:5] offset:16
	;; [unrolled: 2-line block ×4, first 2 shown]
	s_and_saveexec_b32 s0, vcc_lo
	s_cbranch_execz .LBB0_7
; %bb.6:
	v_add_f32_e32 v0, v9, v11
	v_add_f32_e32 v2, v8, v10
	v_lshl_add_u32 v3, v161, 3, v156
	v_add_f32_e32 v1, v0, v33
	v_add_f32_e32 v0, v2, v32
	ds_write2_b64 v3, v[0:1], v[78:79] offset1:1
	ds_write_b64 v3, v[84:85] offset:16
.LBB0_7:
	s_or_b32 exec_lo, exec_lo, s0
	v_and_b32_e32 v0, 0xff, v154
	s_waitcnt lgkmcnt(0)
	s_barrier
	buffer_gl0_inv
	v_mov_b32_e32 v42, 48
	v_mul_lo_u16 v0, 0xab, v0
	v_add_nc_u32_e32 v64, 0x800, v153
	v_lshrrev_b16 v41, 9, v0
	v_mul_lo_u16 v0, v41, 3
	v_mul_u32_u24_sdwa v46, v41, v42 dst_sel:DWORD dst_unused:UNUSED_PAD src0_sel:WORD_0 src1_sel:DWORD
	v_sub_nc_u16 v0, v154, v0
	v_and_b32_e32 v45, 0xff, v0
	v_mad_u64_u32 v[28:29], null, 0x78, v45, s[2:3]
	v_or_b32_e32 v61, v46, v45
	s_clause 0x7
	global_load_dwordx4 v[24:27], v[28:29], off
	global_load_dwordx4 v[16:19], v[28:29], off offset:16
	global_load_dwordx4 v[8:11], v[28:29], off offset:32
	;; [unrolled: 1-line block ×6, first 2 shown]
	global_load_dwordx2 v[149:150], v[28:29], off offset:112
	ds_read2_b64 v[28:31], v153 offset1:27
	ds_read2_b64 v[32:35], v153 offset0:54 offset1:81
	ds_read2_b64 v[36:39], v153 offset0:108 offset1:135
	;; [unrolled: 1-line block ×7, first 2 shown]
	v_lshl_add_u32 v158, v61, 3, v156
	s_waitcnt vmcnt(0) lgkmcnt(0)
	s_barrier
	buffer_gl0_inv
	v_mul_f32_e32 v61, v31, v25
	v_mul_f32_e32 v62, v30, v25
	v_mul_f32_e32 v63, v33, v27
	v_mul_f32_e32 v65, v32, v27
	v_mul_f32_e32 v66, v35, v17
	v_mul_f32_e32 v67, v34, v17
	v_mul_f32_e32 v68, v37, v19
	v_mul_f32_e32 v69, v36, v19
	v_mul_f32_e32 v70, v39, v9
	v_mul_f32_e32 v71, v38, v9
	v_mul_f32_e32 v72, v42, v11
	v_mul_f32_e32 v73, v41, v11
	v_mul_f32_e32 v74, v44, v1
	v_mul_f32_e32 v75, v43, v1
	v_mul_f32_e32 v76, v46, v3
	v_mul_f32_e32 v77, v45, v3
	v_mul_f32_e32 v80, v48, v21
	v_mul_f32_e32 v81, v47, v21
	v_mul_f32_e32 v82, v50, v23
	v_mul_f32_e32 v83, v49, v23
	v_mul_f32_e32 v86, v52, v13
	v_mul_f32_e32 v87, v51, v13
	v_mul_f32_e32 v88, v54, v15
	v_mul_f32_e32 v89, v53, v15
	v_mul_f32_e32 v90, v56, v5
	v_mul_f32_e32 v91, v55, v5
	v_mul_f32_e32 v92, v58, v7
	v_mul_f32_e32 v93, v57, v7
	v_mul_f32_e32 v94, v60, v150
	v_mul_f32_e32 v95, v59, v150
	v_fma_f32 v30, v30, v24, -v61
	v_fmac_f32_e32 v62, v31, v24
	v_fma_f32 v31, v32, v26, -v63
	v_fmac_f32_e32 v65, v33, v26
	;; [unrolled: 2-line block ×15, first 2 shown]
	v_sub_f32_e32 v37, v28, v37
	v_sub_f32_e32 v46, v29, v77
	;; [unrolled: 1-line block ×16, first 2 shown]
	v_fma_f32 v28, v28, 2.0, -v37
	v_fma_f32 v29, v29, 2.0, -v46
	;; [unrolled: 1-line block ×16, first 2 shown]
	v_sub_f32_e32 v47, v37, v47
	v_add_f32_e32 v42, v46, v42
	v_sub_f32_e32 v49, v39, v49
	v_add_f32_e32 v44, v48, v44
	;; [unrolled: 2-line block ×4, first 2 shown]
	v_sub_f32_e32 v33, v28, v33
	v_sub_f32_e32 v54, v29, v54
	v_fma_f32 v37, v37, 2.0, -v47
	v_fma_f32 v46, v46, 2.0, -v42
	v_sub_f32_e32 v35, v31, v35
	v_sub_f32_e32 v56, v55, v56
	v_fma_f32 v39, v39, 2.0, -v49
	v_fma_f32 v48, v48, 2.0, -v44
	;; [unrolled: 4-line block ×4, first 2 shown]
	v_fmamk_f32 v62, v44, 0x3f3504f3, v42
	v_fmamk_f32 v61, v49, 0x3f3504f3, v47
	;; [unrolled: 1-line block ×4, first 2 shown]
	v_fma_f32 v66, v28, 2.0, -v33
	v_fma_f32 v67, v29, 2.0, -v54
	;; [unrolled: 1-line block ×8, first 2 shown]
	v_fmamk_f32 v57, v39, 0xbf3504f3, v37
	v_fmamk_f32 v59, v48, 0xbf3504f3, v46
	v_fmac_f32_e32 v62, 0x3f3504f3, v49
	v_fmamk_f32 v49, v41, 0xbf3504f3, v38
	v_fmamk_f32 v69, v52, 0xbf3504f3, v50
	v_sub_f32_e32 v56, v33, v56
	v_add_f32_e32 v68, v54, v35
	v_fmac_f32_e32 v61, 0xbf3504f3, v44
	v_sub_f32_e32 v44, v34, v60
	v_add_f32_e32 v60, v58, v36
	v_fmac_f32_e32 v63, 0xbf3504f3, v45
	v_fmac_f32_e32 v65, 0x3f3504f3, v53
	v_sub_f32_e32 v45, v66, v28
	v_sub_f32_e32 v53, v67, v29
	v_fmac_f32_e32 v57, 0xbf3504f3, v48
	v_fmac_f32_e32 v59, 0x3f3504f3, v39
	v_sub_f32_e32 v35, v30, v32
	v_sub_f32_e32 v36, v31, v55
	v_fmac_f32_e32 v49, 0xbf3504f3, v52
	v_fmac_f32_e32 v69, 0x3f3504f3, v41
	v_fma_f32 v70, v33, 2.0, -v56
	v_fma_f32 v54, v54, 2.0, -v68
	;; [unrolled: 1-line block ×8, first 2 shown]
	v_fmamk_f32 v28, v44, 0x3f3504f3, v56
	v_fmamk_f32 v29, v60, 0x3f3504f3, v68
	;; [unrolled: 1-line block ×4, first 2 shown]
	v_fma_f32 v52, v66, 2.0, -v45
	v_fma_f32 v55, v67, 2.0, -v53
	;; [unrolled: 1-line block ×8, first 2 shown]
	v_fmamk_f32 v30, v47, 0xbf3504f3, v70
	v_fmamk_f32 v31, v48, 0xbf3504f3, v54
	;; [unrolled: 1-line block ×4, first 2 shown]
	v_sub_f32_e32 v34, v45, v36
	v_fmamk_f32 v36, v49, 0x3ec3ef15, v57
	v_fmamk_f32 v37, v69, 0x3ec3ef15, v59
	v_fmac_f32_e32 v28, 0xbf3504f3, v60
	v_fmac_f32_e32 v29, 0x3f3504f3, v44
	;; [unrolled: 1-line block ×4, first 2 shown]
	v_sub_f32_e32 v38, v52, v39
	v_sub_f32_e32 v39, v55, v41
	v_fmamk_f32 v41, v67, 0xbf6c835e, v58
	v_fmamk_f32 v42, v50, 0xbf6c835e, v66
	v_fmac_f32_e32 v30, 0xbf3504f3, v48
	v_fmac_f32_e32 v31, 0x3f3504f3, v47
	;; [unrolled: 1-line block ×4, first 2 shown]
	v_add_f32_e32 v35, v53, v35
	v_fmac_f32_e32 v36, 0xbf6c835e, v69
	v_fmac_f32_e32 v37, 0x3f6c835e, v49
	v_fma_f32 v43, v45, 2.0, -v34
	v_fma_f32 v45, v56, 2.0, -v28
	;; [unrolled: 1-line block ×5, first 2 shown]
	v_fmac_f32_e32 v41, 0xbec3ef15, v50
	v_fmac_f32_e32 v42, 0x3ec3ef15, v67
	ds_write2_b64 v158, v[28:29], v[76:77] offset0:42 offset1:45
	v_fma_f32 v28, v52, 2.0, -v38
	v_fma_f32 v49, v70, 2.0, -v30
	;; [unrolled: 1-line block ×9, first 2 shown]
	ds_write2_b64 v158, v[45:46], v[47:48] offset0:18 offset1:21
	ds_write2_b64 v158, v[30:31], v[32:33] offset0:30 offset1:33
	v_fma_f32 v30, v58, 2.0, -v41
	v_fma_f32 v31, v66, 2.0, -v42
	ds_write2_b64 v158, v[34:35], v[36:37] offset0:36 offset1:39
	ds_write2_b64 v158, v[49:50], v[51:52] offset0:6 offset1:9
	;; [unrolled: 1-line block ×4, first 2 shown]
	ds_write2_b64 v158, v[28:29], v[30:31] offset1:3
	s_waitcnt lgkmcnt(0)
	s_barrier
	buffer_gl0_inv
	ds_read2_b64 v[60:63], v153 offset1:27
	ds_read2_b64 v[28:31], v153 offset0:108 offset1:144
	ds_read2_b64 v[72:75], v64 offset0:32 offset1:59
	ds_read2_b64 v[80:83], v153 offset0:171 offset1:198
	ds_read2_b64 v[56:59], v153 offset0:54 offset1:81
	ds_read2_b64 v[68:71], v64 offset0:86 offset1:113
	ds_read2_b64 v[64:67], v153 offset0:225 offset1:252
	ds_read_b64 v[86:87], v153 offset:3168
	s_and_saveexec_b32 s0, vcc_lo
	s_cbranch_execz .LBB0_9
; %bb.8:
	v_add_nc_u32_e32 v32, 0x400, v153
	ds_read2_b64 v[76:79], v32 offset0:7 offset1:151
	ds_read_b64 v[84:85], v153 offset:3384
.LBB0_9:
	s_or_b32 exec_lo, exec_lo, s0
	v_add_co_u32 v41, s0, 0xffffffeb, v154
	v_add_co_ci_u32_e64 v42, null, 0, -1, s0
	v_cmp_gt_u16_e64 s0, 21, v154
	v_lshlrev_b32_e32 v90, 4, v154
	v_add_nc_u32_e32 v91, 6, v154
	v_mov_b32_e32 v95, 0x90
	v_cndmask_b32_e64 v89, v42, v40, s0
	v_cndmask_b32_e64 v88, v41, v177, s0
	v_and_b32_e32 v42, 0xff, v175
	global_load_dwordx4 v[36:39], v90, s[2:3] offset:360
	v_lshlrev_b32_e32 v32, 4, v91
	v_lshl_add_u32 v167, v91, 3, v156
	v_lshlrev_b64 v[40:41], 4, v[88:89]
	v_mul_lo_u16 v42, 0xab, v42
	global_load_dwordx4 v[32:35], v32, s[2:3] offset:360
	v_add_co_u32 v40, s0, s2, v40
	v_add_co_ci_u32_e64 v41, s0, s3, v41, s0
	v_lshrrev_b16 v89, 13, v42
	v_and_b32_e32 v42, 0xff, v174
	v_cmp_lt_u16_e64 s0, 20, v154
	global_load_dwordx4 v[52:55], v[40:41], off offset:360
	v_mov_b32_e32 v41, 4
	v_mul_lo_u16 v40, v89, 48
	v_mul_lo_u16 v42, 0xab, v42
	v_cndmask_b32_e64 v96, 0, 0x90, s0
	v_mul_u32_u24_sdwa v89, v89, v95 dst_sel:DWORD dst_unused:UNUSED_PAD src0_sel:WORD_0 src1_sel:DWORD
	v_add_co_u32 v151, s0, s2, v90
	v_sub_nc_u16 v92, v175, v40
	v_and_b32_e32 v40, 0xff, v172
	v_lshrrev_b16 v42, 13, v42
	v_add_nc_u32_e32 v88, v88, v96
	v_add_co_ci_u32_e64 v152, null, s3, 0, s0
	v_mul_lo_u16 v40, 0xab, v40
	v_mul_lo_u16 v42, v42, 48
	v_lshlrev_b32_sdwa v43, v41, v92 dst_sel:DWORD dst_unused:UNUSED_PAD src0_sel:DWORD src1_sel:BYTE_0
	v_add_nc_u32_sdwa v89, v89, v92 dst_sel:DWORD dst_unused:UNUSED_PAD src0_sel:DWORD src1_sel:BYTE_0
	v_lshl_add_u32 v170, v88, 3, v156
	v_lshrrev_b16 v40, 13, v40
	v_sub_nc_u16 v42, v174, v42
	global_load_dwordx4 v[48:51], v43, s[2:3] offset:360
	v_lshl_add_u32 v168, v89, 3, v156
	v_mul_lo_u16 v40, v40, 48
	v_and_b32_e32 v93, 0xff, v42
	v_sub_nc_u16 v94, v172, v40
	v_lshlrev_b32_e32 v40, 4, v93
	v_lshl_add_u32 v169, v93, 3, v156
	v_lshlrev_b32_sdwa v41, v41, v94 dst_sel:DWORD dst_unused:UNUSED_PAD src0_sel:DWORD src1_sel:BYTE_0
	s_clause 0x1
	global_load_dwordx4 v[44:47], v40, s[2:3] offset:360
	global_load_dwordx4 v[40:43], v41, s[2:3] offset:360
	v_and_b32_e32 v166, 0xff, v94
	s_waitcnt vmcnt(0) lgkmcnt(0)
	s_barrier
	buffer_gl0_inv
	v_add_nc_u32_e32 v91, 0x800, v169
	v_mul_f32_e32 v88, v31, v37
	v_mul_f32_e32 v89, v30, v37
	;; [unrolled: 1-line block ×4, first 2 shown]
	v_fma_f32 v30, v30, v36, -v88
	v_fmac_f32_e32 v89, v31, v36
	v_fma_f32 v31, v72, v38, -v90
	v_mul_f32_e32 v72, v83, v33
	v_mul_f32_e32 v88, v82, v33
	;; [unrolled: 1-line block ×4, first 2 shown]
	v_fmac_f32_e32 v92, v73, v38
	v_fma_f32 v72, v82, v32, -v72
	v_fmac_f32_e32 v88, v83, v32
	v_fma_f32 v73, v68, v34, -v90
	v_fmac_f32_e32 v93, v69, v34
	v_add_f32_e32 v68, v60, v30
	v_add_f32_e32 v69, v30, v31
	v_sub_f32_e32 v82, v89, v92
	v_add_f32_e32 v83, v61, v89
	v_add_f32_e32 v89, v89, v92
	v_sub_f32_e32 v90, v30, v31
	v_add_f32_e32 v30, v68, v31
	v_fma_f32 v60, -0.5, v69, v60
	v_add_f32_e32 v31, v83, v92
	v_fma_f32 v61, -0.5, v89, v61
	v_add_f32_e32 v83, v56, v72
	v_add_f32_e32 v89, v72, v73
	v_sub_f32_e32 v92, v88, v93
	v_add_f32_e32 v94, v57, v88
	v_add_f32_e32 v88, v88, v93
	v_mul_f32_e32 v97, v80, v53
	v_mul_f32_e32 v99, v74, v55
	;; [unrolled: 1-line block ×4, first 2 shown]
	v_sub_f32_e32 v95, v72, v73
	v_fmamk_f32 v68, v82, 0x3f5db3d7, v60
	v_fmamk_f32 v69, v90, 0xbf5db3d7, v61
	v_add_f32_e32 v72, v83, v73
	v_fma_f32 v56, -0.5, v89, v56
	v_fma_f32 v57, -0.5, v88, v57
	v_fmac_f32_e32 v97, v81, v52
	v_fmac_f32_e32 v99, v75, v54
	v_mul_f32_e32 v83, v64, v49
	v_mul_f32_e32 v88, v71, v51
	v_fmac_f32_e32 v60, 0xbf5db3d7, v82
	v_fmac_f32_e32 v61, 0x3f5db3d7, v90
	v_fma_f32 v80, v80, v52, -v96
	v_fma_f32 v81, v74, v54, -v98
	v_mul_f32_e32 v82, v65, v49
	v_mul_f32_e32 v89, v70, v51
	v_add_f32_e32 v73, v94, v93
	v_fmamk_f32 v74, v92, 0x3f5db3d7, v56
	v_fmac_f32_e32 v56, 0xbf5db3d7, v92
	ds_write2_b64 v153, v[30:31], v[68:69] offset1:48
	ds_write_b64 v153, v[60:61] offset:768
	v_add_f32_e32 v68, v97, v99
	v_fmac_f32_e32 v83, v65, v48
	v_fma_f32 v65, v70, v50, -v88
	v_mul_f32_e32 v70, v67, v45
	v_mul_f32_e32 v88, v79, v41
	;; [unrolled: 1-line block ×5, first 2 shown]
	v_add_f32_e32 v30, v62, v80
	v_add_f32_e32 v31, v80, v81
	v_sub_f32_e32 v69, v80, v81
	v_fma_f32 v64, v64, v48, -v82
	v_fmac_f32_e32 v89, v71, v50
	v_mul_f32_e32 v71, v66, v45
	v_mul_f32_e32 v80, v87, v47
	;; [unrolled: 1-line block ×3, first 2 shown]
	v_add_f32_e32 v60, v63, v97
	v_fmac_f32_e32 v63, -0.5, v68
	v_fma_f32 v66, v66, v44, -v70
	v_fma_f32 v68, v78, v40, -v88
	v_fmac_f32_e32 v90, v79, v40
	v_fma_f32 v70, v84, v42, -v92
	v_fmac_f32_e32 v93, v85, v42
	v_add_f32_e32 v30, v30, v81
	v_fmac_f32_e32 v71, v67, v44
	v_fma_f32 v67, v86, v46, -v80
	v_fmac_f32_e32 v82, v87, v46
	v_add_f32_e32 v78, v58, v64
	v_add_f32_e32 v79, v64, v65
	;; [unrolled: 1-line block ×3, first 2 shown]
	v_sub_f32_e32 v61, v97, v99
	v_fma_f32 v62, -0.5, v31, v62
	v_sub_f32_e32 v80, v83, v89
	v_add_f32_e32 v83, v83, v89
	v_add_f32_e32 v85, v68, v70
	v_add_f32_e32 v88, v90, v93
	v_sub_f32_e32 v84, v64, v65
	v_add_f32_e32 v64, v78, v65
	v_fma_f32 v58, -0.5, v79, v58
	v_add_f32_e32 v65, v81, v89
	v_add_f32_e32 v78, v66, v67
	v_sub_f32_e32 v79, v71, v82
	v_add_f32_e32 v81, v29, v71
	v_add_f32_e32 v71, v71, v82
	;; [unrolled: 1-line block ×3, first 2 shown]
	v_fmamk_f32 v60, v61, 0x3f5db3d7, v62
	v_fmac_f32_e32 v62, 0xbf5db3d7, v61
	v_fmamk_f32 v61, v69, 0xbf5db3d7, v63
	v_fmac_f32_e32 v59, -0.5, v83
	v_add_f32_e32 v83, v76, v68
	v_sub_f32_e32 v86, v90, v93
	v_add_f32_e32 v87, v77, v90
	v_sub_f32_e32 v68, v68, v70
	v_fmac_f32_e32 v76, -0.5, v85
	v_fmac_f32_e32 v77, -0.5, v88
	v_fmac_f32_e32 v63, 0x3f5db3d7, v69
	v_add_f32_e32 v69, v28, v66
	v_sub_f32_e32 v66, v66, v67
	v_fma_f32 v28, -0.5, v78, v28
	v_fmac_f32_e32 v29, -0.5, v71
	v_fmamk_f32 v75, v95, 0xbf5db3d7, v57
	v_fmac_f32_e32 v57, 0x3f5db3d7, v95
	ds_write2_b64 v170, v[30:31], v[60:61] offset1:48
	ds_write_b64 v170, v[62:63] offset:768
	ds_write_b64 v153, v[72:73] offset:1200
	;; [unrolled: 1-line block ×4, first 2 shown]
	v_fmamk_f32 v30, v80, 0x3f5db3d7, v58
	v_fmac_f32_e32 v58, 0xbf5db3d7, v80
	v_fmamk_f32 v31, v84, 0xbf5db3d7, v59
	v_add_f32_e32 v57, v81, v82
	v_add_f32_e32 v80, v83, v70
	;; [unrolled: 1-line block ×3, first 2 shown]
	v_fmamk_f32 v82, v86, 0x3f5db3d7, v76
	v_fmac_f32_e32 v76, 0xbf5db3d7, v86
	v_fmamk_f32 v83, v68, 0xbf5db3d7, v77
	v_fmac_f32_e32 v77, 0x3f5db3d7, v68
	v_fmac_f32_e32 v59, 0x3f5db3d7, v84
	v_add_f32_e32 v56, v69, v67
	v_fmamk_f32 v60, v79, 0x3f5db3d7, v28
	v_fmamk_f32 v61, v66, 0xbf5db3d7, v29
	v_fmac_f32_e32 v28, 0xbf5db3d7, v79
	v_fmac_f32_e32 v29, 0x3f5db3d7, v66
	ds_write2_b64 v168, v[64:65], v[30:31] offset1:48
	ds_write_b64 v168, v[58:59] offset:768
	ds_write2_b64 v91, v[56:57], v[60:61] offset0:32 offset1:80
	ds_write_b64 v169, v[28:29] offset:3072
	s_and_saveexec_b32 s0, vcc_lo
	s_cbranch_execz .LBB0_11
; %bb.10:
	v_lshl_add_u32 v28, v166, 3, v156
	v_add_nc_u32_e32 v29, 0x800, v28
	ds_write2_b64 v29, v[80:81], v[82:83] offset0:32 offset1:80
	ds_write_b64 v28, v[76:77] offset:3072
.LBB0_11:
	s_or_b32 exec_lo, exec_lo, s0
	v_add_nc_u32_e32 v84, 0x800, v153
	s_waitcnt lgkmcnt(0)
	s_barrier
	buffer_gl0_inv
	ds_read2_b64 v[94:97], v153 offset1:27
	ds_read2_b64 v[86:89], v153 offset0:108 offset1:144
	ds_read2_b64 v[98:101], v84 offset0:32 offset1:59
	;; [unrolled: 1-line block ×6, first 2 shown]
	ds_read_b64 v[78:79], v153 offset:3168
	s_and_saveexec_b32 s0, vcc_lo
	s_cbranch_execz .LBB0_13
; %bb.12:
	v_add_nc_u32_e32 v28, 0x400, v153
	ds_read2_b64 v[80:83], v28 offset0:7 offset1:151
	ds_read_b64 v[76:77], v153 offset:3384
.LBB0_13:
	s_or_b32 exec_lo, exec_lo, s0
	v_lshlrev_b32_e32 v28, 4, v177
	v_lshlrev_b32_e32 v29, 4, v176
	global_load_dwordx4 v[60:63], v[151:152], off offset:1128
	v_lshl_add_u32 v151, v171, 3, v165
	s_clause 0x1
	global_load_dwordx4 v[72:75], v28, s[2:3] offset:1128
	global_load_dwordx4 v[68:71], v29, s[2:3] offset:1128
	v_lshlrev_b32_e32 v28, 4, v175
	v_lshlrev_b32_e32 v29, 4, v174
	s_clause 0x1
	global_load_dwordx4 v[64:67], v28, s[2:3] offset:1128
	global_load_dwordx4 v[56:59], v29, s[2:3] offset:1128
	v_add_co_u32 v28, s0, v154, -9
	v_add_co_ci_u32_e64 v29, null, 0, -1, s0
	v_cndmask_b32_e32 v28, v28, v172, vcc_lo
	v_add_nc_u32_e32 v172, 0x600, v151
	v_cndmask_b32_e32 v29, v29, v173, vcc_lo
	v_lshlrev_b64 v[28:29], 4, v[28:29]
	v_add_co_u32 v28, s0, s2, v28
	v_add_co_ci_u32_e64 v29, s0, s3, v29, s0
	global_load_dwordx4 v[28:31], v[28:29], off offset:1128
	s_waitcnt vmcnt(5) lgkmcnt(6)
	v_mul_f32_e32 v85, v89, v61
	v_mul_f32_e32 v152, v88, v61
	s_waitcnt lgkmcnt(5)
	v_mul_f32_e32 v165, v99, v63
	v_mul_f32_e32 v171, v98, v63
	s_waitcnt vmcnt(3) lgkmcnt(4)
	v_mul_f32_e32 v173, v105, v69
	v_fma_f32 v85, v88, v60, -v85
	v_fmac_f32_e32 v152, v89, v60
	v_fma_f32 v88, v98, v62, -v165
	v_fmac_f32_e32 v171, v99, v62
	v_mul_f32_e32 v89, v103, v73
	v_mul_f32_e32 v98, v102, v73
	;; [unrolled: 1-line block ×5, first 2 shown]
	s_waitcnt lgkmcnt(2)
	v_mul_f32_e32 v175, v107, v71
	s_waitcnt vmcnt(2)
	v_mul_f32_e32 v179, v109, v67
	s_waitcnt vmcnt(1) lgkmcnt(0)
	v_mul_f32_e32 v183, v79, v59
	v_mul_f32_e32 v184, v78, v59
	;; [unrolled: 1-line block ×6, first 2 shown]
	v_fma_f32 v102, v102, v72, -v89
	v_fmac_f32_e32 v98, v103, v72
	v_fma_f32 v99, v100, v74, -v99
	v_fmac_f32_e32 v165, v101, v74
	;; [unrolled: 2-line block ×3, first 2 shown]
	v_fma_f32 v101, v106, v70, -v175
	v_fma_f32 v104, v108, v66, -v179
	;; [unrolled: 1-line block ×3, first 2 shown]
	v_fmac_f32_e32 v184, v79, v58
	v_add_f32_e32 v78, v94, v85
	v_add_f32_e32 v79, v85, v88
	;; [unrolled: 1-line block ×4, first 2 shown]
	v_mul_f32_e32 v177, v111, v65
	v_mul_f32_e32 v181, v113, v57
	v_fmac_f32_e32 v176, v107, v70
	v_fmac_f32_e32 v178, v111, v64
	;; [unrolled: 1-line block ×4, first 2 shown]
	v_sub_f32_e32 v107, v152, v171
	v_sub_f32_e32 v85, v85, v88
	v_add_f32_e32 v78, v78, v88
	v_fma_f32 v88, -0.5, v79, v94
	v_add_f32_e32 v79, v89, v171
	v_fma_f32 v89, -0.5, v108, v95
	v_add_f32_e32 v108, v96, v102
	v_add_f32_e32 v109, v102, v99
	;; [unrolled: 1-line block ×3, first 2 shown]
	v_sub_f32_e32 v113, v102, v99
	v_add_f32_e32 v102, v90, v100
	v_add_f32_e32 v152, v100, v101
	;; [unrolled: 1-line block ×3, first 2 shown]
	v_fma_f32 v103, v110, v64, -v177
	v_fma_f32 v105, v112, v56, -v181
	v_sub_f32_e32 v110, v98, v165
	v_add_f32_e32 v112, v98, v165
	v_sub_f32_e32 v175, v100, v101
	v_fmamk_f32 v94, v107, 0x3f5db3d7, v88
	v_fmamk_f32 v95, v85, 0xbf5db3d7, v89
	v_fmac_f32_e32 v89, 0x3f5db3d7, v85
	v_add_f32_e32 v98, v108, v99
	v_add_f32_e32 v99, v111, v165
	;; [unrolled: 1-line block ×3, first 2 shown]
	v_fma_f32 v90, -0.5, v152, v90
	v_add_f32_e32 v101, v173, v176
	s_waitcnt vmcnt(0)
	v_mul_f32_e32 v85, v83, v29
	v_mul_f32_e32 v152, v82, v29
	;; [unrolled: 1-line block ×4, first 2 shown]
	v_fmac_f32_e32 v88, 0xbf5db3d7, v107
	v_sub_f32_e32 v171, v174, v176
	v_add_f32_e32 v174, v174, v176
	ds_write_b64 v153, v[94:95] offset:1152
	ds_write_b64 v153, v[88:89] offset:2304
	ds_write2_b64 v153, v[78:79], v[98:99] offset1:27
	v_fma_f32 v78, v82, v28, -v85
	v_fma_f32 v76, v76, v30, -v165
	v_fmac_f32_e32 v152, v83, v28
	v_fmac_f32_e32 v173, v77, v30
	v_add_f32_e32 v177, v92, v103
	v_add_f32_e32 v186, v86, v105
	v_fma_f32 v96, -0.5, v109, v96
	v_fmac_f32_e32 v97, -0.5, v112
	v_fma_f32 v91, -0.5, v174, v91
	v_add_f32_e32 v77, v78, v76
	v_add_f32_e32 v82, v152, v173
	;; [unrolled: 1-line block ×3, first 2 shown]
	v_sub_f32_e32 v181, v178, v180
	v_add_f32_e32 v183, v93, v178
	v_add_f32_e32 v178, v178, v180
	;; [unrolled: 1-line block ×3, first 2 shown]
	v_sub_f32_e32 v188, v182, v184
	v_add_f32_e32 v189, v87, v182
	v_add_f32_e32 v182, v182, v184
	v_sub_f32_e32 v185, v103, v104
	v_sub_f32_e32 v190, v105, v106
	v_add_f32_e32 v102, v177, v104
	v_add_f32_e32 v104, v186, v106
	v_fmamk_f32 v106, v110, 0x3f5db3d7, v96
	v_fmamk_f32 v107, v113, 0xbf5db3d7, v97
	;; [unrolled: 1-line block ×4, first 2 shown]
	v_add_f32_e32 v79, v80, v78
	v_sub_f32_e32 v85, v152, v173
	v_add_f32_e32 v83, v81, v152
	v_fmac_f32_e32 v80, -0.5, v77
	v_sub_f32_e32 v77, v78, v76
	v_fmac_f32_e32 v81, -0.5, v82
	v_fma_f32 v92, -0.5, v179, v92
	v_fmac_f32_e32 v93, -0.5, v178
	v_fmac_f32_e32 v96, 0xbf5db3d7, v110
	v_fmac_f32_e32 v97, 0x3f5db3d7, v113
	;; [unrolled: 1-line block ×4, first 2 shown]
	v_fma_f32 v86, -0.5, v187, v86
	v_fmac_f32_e32 v87, -0.5, v182
	v_add_f32_e32 v103, v183, v180
	ds_write2_b64 v153, v[106:107], v[108:109] offset0:171 offset1:198
	ds_write2_b64 v84, v[96:97], v[90:91] offset0:59 offset1:86
	v_add_f32_e32 v82, v79, v76
	v_add_f32_e32 v83, v83, v173
	v_fmamk_f32 v84, v85, 0x3f5db3d7, v80
	v_fmac_f32_e32 v80, 0xbf5db3d7, v85
	v_fmamk_f32 v85, v77, 0xbf5db3d7, v81
	v_fmac_f32_e32 v81, 0x3f5db3d7, v77
	v_fmamk_f32 v110, v181, 0x3f5db3d7, v92
	v_fmamk_f32 v111, v185, 0xbf5db3d7, v93
	v_fmac_f32_e32 v92, 0xbf5db3d7, v181
	v_fmac_f32_e32 v93, 0x3f5db3d7, v185
	v_add_f32_e32 v105, v189, v184
	v_fmamk_f32 v112, v188, 0x3f5db3d7, v86
	v_fmac_f32_e32 v86, 0xbf5db3d7, v188
	v_fmamk_f32 v113, v190, 0xbf5db3d7, v87
	v_fmac_f32_e32 v87, 0x3f5db3d7, v190
	ds_write2_b64 v153, v[100:101], v[102:103] offset0:54 offset1:81
	ds_write_b64 v153, v[110:111] offset:1800
	ds_write_b64 v153, v[92:93] offset:2952
	;; [unrolled: 1-line block ×3, first 2 shown]
	ds_write2_b64 v172, v[112:113], v[86:87] offset0:60 offset1:204
	s_and_saveexec_b32 s0, vcc_lo
	s_cbranch_execz .LBB0_15
; %bb.14:
	v_add_nc_u32_e32 v76, 0x400, v153
	ds_write2_b64 v76, v[82:83], v[84:85] offset0:7 offset1:151
	ds_write_b64 v153, v[80:81] offset:3384
.LBB0_15:
	s_or_b32 exec_lo, exec_lo, s0
	v_lshlrev_b32_e32 v86, 3, v154
	s_add_u32 s2, s16, 0xd80
	s_addc_u32 s3, s17, 0
	s_waitcnt lgkmcnt(0)
	s_barrier
	v_add_co_u32 v78, s0, s2, v86
	v_add_co_ci_u32_e64 v79, null, s3, 0, s0
	buffer_gl0_inv
	s_clause 0x9
	global_load_dwordx2 v[111:112], v86, s[2:3]
	global_load_dwordx2 v[175:176], v86, s[2:3] offset:1152
	global_load_dwordx2 v[177:178], v86, s[2:3] offset:216
	;; [unrolled: 1-line block ×3, first 2 shown]
	global_load_dwordx2 v[181:182], v157, s[2:3]
	global_load_dwordx2 v[183:184], v86, s[2:3] offset:1368
	global_load_dwordx2 v[185:186], v86, s[2:3] offset:1584
	;; [unrolled: 1-line block ×5, first 2 shown]
	v_add_co_u32 v76, s0, 0x800, v78
	v_add_co_ci_u32_e64 v77, s0, 0, v79, s0
	v_add_nc_u32_e32 v94, 0x800, v153
	s_clause 0x4
	global_load_dwordx2 v[193:194], v[76:77], off offset:472
	global_load_dwordx2 v[195:196], v[76:77], off offset:688
	;; [unrolled: 1-line block ×3, first 2 shown]
	global_load_dwordx2 v[199:200], v86, s[2:3] offset:2016
	global_load_dwordx2 v[201:202], v[76:77], off offset:1120
	ds_read2_b64 v[86:89], v153 offset1:27
	ds_read2_b64 v[90:93], v153 offset0:108 offset1:144
	ds_read2_b64 v[95:98], v94 offset0:32 offset1:59
	;; [unrolled: 1-line block ×5, first 2 shown]
	ds_read_b64 v[203:204], v153 offset:3168
	ds_read2_b64 v[171:174], v94 offset0:86 offset1:113
	s_waitcnt vmcnt(14) lgkmcnt(7)
	v_mul_f32_e32 v152, v87, v112
	v_mul_f32_e32 v113, v86, v112
	s_waitcnt vmcnt(13) lgkmcnt(6)
	v_mul_f32_e32 v157, v93, v176
	v_mul_f32_e32 v206, v92, v176
	;; [unrolled: 3-line block ×3, first 2 shown]
	v_mul_f32_e32 v207, v89, v178
	v_mul_f32_e32 v182, v88, v178
	s_waitcnt vmcnt(9) lgkmcnt(4)
	v_mul_f32_e32 v208, v100, v184
	v_mul_f32_e32 v178, v99, v184
	s_waitcnt lgkmcnt(3)
	v_mul_f32_e32 v209, v104, v180
	v_mul_f32_e32 v184, v103, v180
	s_waitcnt vmcnt(8)
	v_mul_f32_e32 v210, v102, v186
	v_mul_f32_e32 v180, v101, v186
	s_waitcnt vmcnt(7)
	v_mul_f32_e32 v211, v106, v188
	v_mul_f32_e32 v186, v105, v188
	s_waitcnt vmcnt(6) lgkmcnt(2)
	v_mul_f32_e32 v212, v108, v190
	v_mul_f32_e32 v188, v107, v190
	s_waitcnt vmcnt(5)
	v_mul_f32_e32 v213, v91, v192
	v_mul_f32_e32 v190, v90, v192
	v_fma_f32 v112, v86, v111, -v152
	v_fmac_f32_e32 v113, v87, v111
	s_waitcnt vmcnt(4)
	v_mul_f32_e32 v86, v98, v194
	v_mul_f32_e32 v87, v97, v194
	v_fma_f32 v205, v92, v175, -v157
	v_fmac_f32_e32 v206, v93, v175
	v_fma_f32 v175, v95, v181, -v165
	v_fmac_f32_e32 v176, v96, v181
	;; [unrolled: 2-line block ×9, first 2 shown]
	s_waitcnt vmcnt(3) lgkmcnt(0)
	v_mul_f32_e32 v88, v172, v196
	v_mul_f32_e32 v89, v171, v196
	s_waitcnt vmcnt(2)
	v_mul_f32_e32 v90, v174, v198
	v_mul_f32_e32 v91, v173, v198
	s_waitcnt vmcnt(1)
	;; [unrolled: 3-line block ×3, first 2 shown]
	v_mul_f32_e32 v95, v204, v202
	v_mul_f32_e32 v96, v203, v202
	v_fma_f32 v86, v97, v193, -v86
	v_fmac_f32_e32 v87, v98, v193
	v_fma_f32 v88, v171, v195, -v88
	v_fmac_f32_e32 v89, v172, v195
	;; [unrolled: 2-line block ×5, first 2 shown]
	ds_write2_b64 v153, v[112:113], v[181:182] offset1:27
	ds_write2_b64 v153, v[177:178], v[179:180] offset0:171 offset1:198
	ds_write2_b64 v153, v[183:184], v[185:186] offset0:54 offset1:81
	;; [unrolled: 1-line block ×6, first 2 shown]
	ds_write_b64 v153, v[95:96] offset:3168
	s_and_saveexec_b32 s0, vcc_lo
	s_cbranch_execz .LBB0_17
; %bb.16:
	s_clause 0x2
	global_load_dwordx2 v[86:87], v[78:79], off offset:1080
	global_load_dwordx2 v[88:89], v[76:77], off offset:184
	;; [unrolled: 1-line block ×3, first 2 shown]
	v_add_nc_u32_e32 v97, 0x400, v153
	ds_read2_b64 v[76:79], v97 offset0:7 offset1:151
	ds_read_b64 v[92:93], v153 offset:3384
	s_waitcnt vmcnt(2) lgkmcnt(1)
	v_mul_f32_e32 v95, v77, v87
	v_mul_f32_e32 v96, v76, v87
	s_waitcnt vmcnt(1)
	v_mul_f32_e32 v98, v79, v89
	v_mul_f32_e32 v87, v78, v89
	s_waitcnt vmcnt(0) lgkmcnt(0)
	v_mul_f32_e32 v99, v93, v91
	v_mul_f32_e32 v89, v92, v91
	v_fma_f32 v95, v76, v86, -v95
	v_fmac_f32_e32 v96, v77, v86
	v_fma_f32 v86, v78, v88, -v98
	v_fmac_f32_e32 v87, v79, v88
	;; [unrolled: 2-line block ×3, first 2 shown]
	ds_write2_b64 v97, v[95:96], v[86:87] offset0:7 offset1:151
	ds_write_b64 v153, v[88:89] offset:3384
.LBB0_17:
	s_or_b32 exec_lo, exec_lo, s0
	s_waitcnt lgkmcnt(0)
	s_barrier
	buffer_gl0_inv
	ds_read2_b64 v[90:93], v153 offset1:27
	ds_read2_b64 v[76:79], v153 offset0:108 offset1:144
	ds_read2_b64 v[106:109], v94 offset0:32 offset1:59
	;; [unrolled: 1-line block ×6, first 2 shown]
	ds_read_b64 v[110:111], v153 offset:3168
	s_and_saveexec_b32 s0, vcc_lo
	s_cbranch_execz .LBB0_19
; %bb.18:
	v_add_nc_u32_e32 v80, 0x400, v153
	ds_read2_b64 v[82:85], v80 offset0:7 offset1:151
	ds_read_b64 v[80:81], v153 offset:3384
.LBB0_19:
	s_or_b32 exec_lo, exec_lo, s0
	s_waitcnt lgkmcnt(5)
	v_add_f32_e32 v157, v79, v107
	v_add_f32_e32 v112, v78, v106
	;; [unrolled: 1-line block ×3, first 2 shown]
	v_sub_f32_e32 v152, v79, v107
	v_add_f32_e32 v79, v91, v79
	v_fma_f32 v91, -0.5, v157, v91
	v_sub_f32_e32 v78, v78, v106
	v_fma_f32 v90, -0.5, v112, v90
	s_waitcnt lgkmcnt(4)
	v_add_f32_e32 v165, v102, v108
	v_add_f32_e32 v112, v113, v106
	;; [unrolled: 1-line block ×4, first 2 shown]
	v_fmamk_f32 v172, v78, 0x3f5db3d7, v91
	v_fmac_f32_e32 v91, 0xbf5db3d7, v78
	v_add_f32_e32 v78, v103, v109
	v_fma_f32 v92, -0.5, v165, v92
	v_sub_f32_e32 v107, v103, v109
	v_add_f32_e32 v106, v79, v108
	v_add_f32_e32 v79, v93, v103
	s_waitcnt lgkmcnt(2)
	v_add_f32_e32 v103, v104, v98
	v_fmac_f32_e32 v93, -0.5, v78
	v_sub_f32_e32 v78, v102, v108
	v_fmamk_f32 v173, v107, 0xbf5db3d7, v92
	v_fmac_f32_e32 v92, 0x3f5db3d7, v107
	v_add_f32_e32 v107, v79, v109
	v_add_f32_e32 v79, v86, v104
	v_fma_f32 v102, -0.5, v103, v86
	v_sub_f32_e32 v86, v105, v99
	v_fmamk_f32 v174, v78, 0x3f5db3d7, v93
	v_fmac_f32_e32 v93, 0xbf5db3d7, v78
	v_add_f32_e32 v78, v105, v99
	v_add_f32_e32 v108, v79, v98
	v_fmamk_f32 v175, v86, 0xbf5db3d7, v102
	v_add_f32_e32 v79, v87, v105
	v_fmac_f32_e32 v102, 0x3f5db3d7, v86
	s_waitcnt lgkmcnt(1)
	v_add_f32_e32 v86, v94, v100
	v_fma_f32 v103, -0.5, v78, v87
	v_sub_f32_e32 v78, v104, v98
	v_add_f32_e32 v109, v79, v99
	v_add_f32_e32 v79, v88, v94
	v_fma_f32 v88, -0.5, v86, v88
	v_sub_f32_e32 v86, v95, v101
	v_fmamk_f32 v176, v78, 0x3f5db3d7, v103
	v_fmac_f32_e32 v103, 0xbf5db3d7, v78
	v_add_f32_e32 v78, v95, v101
	v_add_f32_e32 v98, v79, v100
	v_fmamk_f32 v104, v86, 0xbf5db3d7, v88
	v_add_f32_e32 v79, v89, v95
	v_fmac_f32_e32 v88, 0x3f5db3d7, v86
	s_waitcnt lgkmcnt(0)
	v_add_f32_e32 v86, v96, v110
	v_fmac_f32_e32 v89, -0.5, v78
	v_sub_f32_e32 v78, v94, v100
	v_add_f32_e32 v99, v79, v101
	v_add_f32_e32 v79, v76, v96
	v_fma_f32 v76, -0.5, v86, v76
	v_sub_f32_e32 v86, v97, v111
	v_fmamk_f32 v105, v78, 0x3f5db3d7, v89
	v_fmac_f32_e32 v89, 0xbf5db3d7, v78
	v_add_f32_e32 v78, v77, v97
	v_add_f32_e32 v94, v79, v110
	v_fmamk_f32 v100, v86, 0xbf5db3d7, v76
	v_add_f32_e32 v79, v97, v111
	v_fmac_f32_e32 v76, 0x3f5db3d7, v86
	v_add_f32_e32 v86, v84, v80
	v_add_f32_e32 v95, v78, v111
	;; [unrolled: 1-line block ×3, first 2 shown]
	v_fmac_f32_e32 v77, -0.5, v79
	v_sub_f32_e32 v79, v96, v110
	v_fma_f32 v86, -0.5, v86, v82
	v_sub_f32_e32 v96, v85, v81
	v_fma_f32 v87, -0.5, v78, v83
	v_sub_f32_e32 v97, v84, v80
	v_fmamk_f32 v171, v152, 0xbf5db3d7, v90
	v_fmamk_f32 v101, v79, 0x3f5db3d7, v77
	v_fmac_f32_e32 v77, 0xbf5db3d7, v79
	v_fmamk_f32 v78, v96, 0xbf5db3d7, v86
	v_fmac_f32_e32 v86, 0x3f5db3d7, v96
	v_fmamk_f32 v79, v97, 0x3f5db3d7, v87
	v_fmac_f32_e32 v87, 0xbf5db3d7, v97
	v_fmac_f32_e32 v90, 0x3f5db3d7, v152
	s_barrier
	buffer_gl0_inv
	ds_write2_b64 v159, v[112:113], v[171:172] offset1:1
	ds_write_b64 v159, v[90:91] offset:16
	ds_write2_b64 v160, v[106:107], v[173:174] offset1:1
	ds_write_b64 v160, v[92:93] offset:16
	;; [unrolled: 2-line block ×5, first 2 shown]
	s_and_saveexec_b32 s0, vcc_lo
	s_cbranch_execz .LBB0_21
; %bb.20:
	v_add_f32_e32 v76, v83, v85
	v_add_f32_e32 v82, v82, v84
	v_lshl_add_u32 v83, v161, 3, v156
	v_add_f32_e32 v77, v76, v81
	v_add_f32_e32 v76, v82, v80
	ds_write2_b64 v83, v[76:77], v[78:79] offset1:1
	ds_write_b64 v83, v[86:87] offset:16
.LBB0_21:
	s_or_b32 exec_lo, exec_lo, s0
	s_waitcnt lgkmcnt(0)
	s_barrier
	buffer_gl0_inv
	ds_read2_b64 v[80:83], v153 offset1:27
	ds_read2_b64 v[88:91], v153 offset0:54 offset1:81
	ds_read2_b64 v[92:95], v153 offset0:108 offset1:135
	v_add_nc_u32_e32 v84, 0x800, v153
	ds_read2_b64 v[96:99], v153 offset0:162 offset1:189
	ds_read2_b64 v[100:103], v153 offset0:216 offset1:243
	;; [unrolled: 1-line block ×5, first 2 shown]
	s_waitcnt lgkmcnt(0)
	s_barrier
	buffer_gl0_inv
	v_mul_f32_e32 v76, v25, v83
	v_mul_f32_e32 v85, v17, v91
	;; [unrolled: 1-line block ×8, first 2 shown]
	v_fmac_f32_e32 v85, v16, v90
	v_fma_f32 v16, v16, v91, -v17
	v_mul_f32_e32 v17, v9, v95
	v_mul_f32_e32 v9, v9, v94
	v_fmac_f32_e32 v76, v24, v82
	v_fma_f32 v24, v24, v83, -v25
	v_fmac_f32_e32 v77, v26, v88
	v_fma_f32 v25, v26, v89, -v27
	;; [unrolled: 2-line block ×3, first 2 shown]
	v_mul_f32_e32 v19, v11, v97
	v_fmac_f32_e32 v17, v8, v94
	v_fma_f32 v8, v8, v95, -v9
	v_mul_f32_e32 v9, v11, v96
	v_mul_f32_e32 v11, v1, v99
	;; [unrolled: 1-line block ×5, first 2 shown]
	v_fmac_f32_e32 v19, v10, v96
	v_fma_f32 v9, v10, v97, -v9
	v_fmac_f32_e32 v11, v0, v98
	v_fma_f32 v0, v0, v99, -v1
	v_fmac_f32_e32 v26, v2, v100
	v_mul_f32_e32 v1, v21, v103
	v_mul_f32_e32 v10, v21, v102
	v_fma_f32 v2, v2, v101, -v3
	v_mul_f32_e32 v3, v23, v105
	v_mul_f32_e32 v21, v23, v104
	v_fmac_f32_e32 v1, v20, v102
	v_fma_f32 v10, v20, v103, -v10
	v_mul_f32_e32 v20, v13, v107
	v_fmac_f32_e32 v3, v22, v104
	v_fma_f32 v21, v22, v105, -v21
	v_mul_f32_e32 v13, v13, v106
	v_mul_f32_e32 v22, v15, v109
	;; [unrolled: 1-line block ×5, first 2 shown]
	v_fmac_f32_e32 v20, v12, v106
	v_fma_f32 v12, v12, v107, -v13
	v_fmac_f32_e32 v22, v14, v108
	v_fma_f32 v13, v14, v109, -v15
	v_fmac_f32_e32 v23, v4, v110
	v_mul_f32_e32 v14, v7, v160
	v_mul_f32_e32 v7, v7, v159
	v_fma_f32 v4, v4, v111, -v5
	v_mul_f32_e32 v5, v150, v162
	v_mul_f32_e32 v15, v150, v161
	v_fmac_f32_e32 v14, v6, v159
	v_fma_f32 v6, v6, v160, -v7
	v_sub_f32_e32 v7, v80, v26
	v_fmac_f32_e32 v5, v149, v161
	v_fma_f32 v15, v149, v162, -v15
	v_sub_f32_e32 v2, v81, v2
	v_sub_f32_e32 v22, v112, v22
	;; [unrolled: 1-line block ×13, first 2 shown]
	v_fma_f32 v26, v80, 2.0, -v7
	v_fma_f32 v27, v81, 2.0, -v2
	;; [unrolled: 1-line block ×6, first 2 shown]
	v_sub_f32_e32 v1, v76, v1
	v_fma_f32 v19, v19, 2.0, -v14
	v_fma_f32 v9, v9, 2.0, -v6
	;; [unrolled: 1-line block ×3, first 2 shown]
	v_sub_f32_e32 v20, v85, v20
	v_fma_f32 v17, v17, 2.0, -v23
	v_fma_f32 v8, v8, 2.0, -v4
	;; [unrolled: 1-line block ×5, first 2 shown]
	v_sub_f32_e32 v22, v2, v22
	v_sub_f32_e32 v14, v21, v14
	;; [unrolled: 1-line block ×4, first 2 shown]
	v_fma_f32 v76, v76, 2.0, -v1
	v_fma_f32 v81, v85, 2.0, -v20
	v_sub_f32_e32 v80, v26, v80
	v_sub_f32_e32 v18, v27, v18
	v_add_f32_e32 v13, v7, v13
	v_sub_f32_e32 v19, v77, v19
	v_fma_f32 v2, v2, 2.0, -v22
	v_sub_f32_e32 v9, v25, v9
	v_add_f32_e32 v6, v3, v6
	v_sub_f32_e32 v8, v24, v8
	v_fma_f32 v21, v21, 2.0, -v14
	v_add_f32_e32 v4, v1, v4
	v_sub_f32_e32 v0, v16, v0
	v_fma_f32 v10, v10, 2.0, -v23
	v_add_f32_e32 v15, v20, v15
	v_fma_f32 v12, v12, 2.0, -v5
	v_fma_f32 v26, v26, 2.0, -v80
	;; [unrolled: 1-line block ×5, first 2 shown]
	v_sub_f32_e32 v17, v76, v17
	v_fma_f32 v25, v25, 2.0, -v9
	v_fma_f32 v3, v3, 2.0, -v6
	;; [unrolled: 1-line block ×3, first 2 shown]
	v_sub_f32_e32 v11, v81, v11
	v_fma_f32 v1, v1, 2.0, -v4
	v_fma_f32 v16, v16, 2.0, -v0
	;; [unrolled: 1-line block ×3, first 2 shown]
	v_fmamk_f32 v83, v21, 0xbf3504f3, v2
	v_fmamk_f32 v85, v6, 0x3f3504f3, v13
	v_add_f32_e32 v88, v80, v9
	v_fmamk_f32 v92, v12, 0xbf3504f3, v10
	v_fma_f32 v76, v76, 2.0, -v17
	v_fma_f32 v81, v81, 2.0, -v11
	v_fmamk_f32 v82, v3, 0xbf3504f3, v7
	v_sub_f32_e32 v77, v26, v77
	v_sub_f32_e32 v25, v27, v25
	v_fmac_f32_e32 v83, 0xbf3504f3, v3
	v_fmamk_f32 v90, v14, 0x3f3504f3, v22
	v_fmac_f32_e32 v85, 0x3f3504f3, v14
	v_fma_f32 v14, v80, 2.0, -v88
	v_fmamk_f32 v80, v20, 0xbf3504f3, v1
	v_sub_f32_e32 v16, v24, v16
	v_fmac_f32_e32 v92, 0xbf3504f3, v20
	v_fmamk_f32 v96, v5, 0x3f3504f3, v23
	v_sub_f32_e32 v89, v18, v19
	v_fmamk_f32 v93, v15, 0x3f3504f3, v4
	v_sub_f32_e32 v95, v8, v11
	v_fmac_f32_e32 v82, 0x3f3504f3, v21
	v_fma_f32 v21, v26, 2.0, -v77
	v_fma_f32 v26, v27, 2.0, -v25
	;; [unrolled: 1-line block ×3, first 2 shown]
	v_fmac_f32_e32 v90, 0xbf3504f3, v6
	v_sub_f32_e32 v81, v76, v81
	v_fmac_f32_e32 v80, 0x3f3504f3, v12
	v_fma_f32 v3, v24, 2.0, -v16
	v_fma_f32 v6, v10, 2.0, -v92
	v_fmac_f32_e32 v96, 0xbf3504f3, v15
	v_fma_f32 v18, v18, 2.0, -v89
	v_add_f32_e32 v94, v17, v0
	v_fmac_f32_e32 v93, 0x3f3504f3, v5
	v_fma_f32 v12, v8, 2.0, -v95
	v_fma_f32 v27, v7, 2.0, -v82
	;; [unrolled: 1-line block ×6, first 2 shown]
	v_sub_f32_e32 v1, v26, v3
	v_fma_f32 v13, v23, 2.0, -v96
	v_fmamk_f32 v3, v6, 0xbf6c835e, v19
	v_fma_f32 v11, v17, 2.0, -v94
	v_fma_f32 v15, v4, 2.0, -v93
	v_fmamk_f32 v7, v12, 0xbf3504f3, v18
	v_sub_f32_e32 v0, v21, v2
	v_fmamk_f32 v2, v9, 0xbf6c835e, v27
	v_fmac_f32_e32 v3, 0xbec3ef15, v9
	v_fmamk_f32 v9, v13, 0xbec3ef15, v22
	v_fmamk_f32 v8, v15, 0xbec3ef15, v91
	v_fmac_f32_e32 v7, 0xbf3504f3, v11
	v_add_f32_e32 v16, v77, v16
	v_fmac_f32_e32 v2, 0x3ec3ef15, v6
	v_fmac_f32_e32 v9, 0xbf6c835e, v15
	v_fmamk_f32 v6, v11, 0xbf3504f3, v14
	v_fmac_f32_e32 v8, 0x3f6c835e, v13
	v_fma_f32 v11, v19, 2.0, -v3
	v_fma_f32 v13, v18, 2.0, -v7
	v_fmamk_f32 v18, v80, 0x3ec3ef15, v82
	v_fmamk_f32 v19, v92, 0x3ec3ef15, v83
	v_fma_f32 v15, v22, 2.0, -v9
	v_fma_f32 v20, v77, 2.0, -v16
	v_fmamk_f32 v22, v94, 0x3f3504f3, v88
	v_fmamk_f32 v23, v95, 0x3f3504f3, v89
	;; [unrolled: 1-line block ×4, first 2 shown]
	v_fmac_f32_e32 v6, 0x3f3504f3, v12
	v_sub_f32_e32 v17, v25, v81
	v_fmac_f32_e32 v18, 0x3f6c835e, v92
	v_fmac_f32_e32 v19, 0xbf6c835e, v80
	;; [unrolled: 1-line block ×6, first 2 shown]
	v_fma_f32 v4, v21, 2.0, -v0
	v_fma_f32 v5, v26, 2.0, -v1
	v_fma_f32 v10, v27, 2.0, -v2
	v_fma_f32 v12, v14, 2.0, -v6
	v_fma_f32 v14, v91, 2.0, -v8
	v_fma_f32 v21, v25, 2.0, -v17
	v_fma_f32 v24, v82, 2.0, -v18
	v_fma_f32 v25, v83, 2.0, -v19
	v_fma_f32 v26, v88, 2.0, -v22
	v_fma_f32 v27, v89, 2.0, -v23
	v_fma_f32 v80, v85, 2.0, -v76
	v_fma_f32 v81, v90, 2.0, -v77
	ds_write2_b64 v158, v[4:5], v[10:11] offset1:3
	ds_write2_b64 v158, v[12:13], v[14:15] offset0:6 offset1:9
	ds_write2_b64 v158, v[20:21], v[24:25] offset0:12 offset1:15
	;; [unrolled: 1-line block ×7, first 2 shown]
	s_waitcnt lgkmcnt(0)
	s_barrier
	buffer_gl0_inv
	ds_read2_b64 v[12:15], v153 offset1:27
	ds_read2_b64 v[4:7], v153 offset0:108 offset1:144
	ds_read2_b64 v[24:27], v84 offset0:32 offset1:59
	;; [unrolled: 1-line block ×6, first 2 shown]
	ds_read_b64 v[80:81], v153 offset:3168
	s_and_saveexec_b32 s0, vcc_lo
	s_cbranch_execz .LBB0_23
; %bb.22:
	v_add_nc_u32_e32 v76, 0x400, v153
	ds_read2_b64 v[76:79], v76 offset0:7 offset1:151
	ds_read_b64 v[86:87], v153 offset:3384
.LBB0_23:
	s_or_b32 exec_lo, exec_lo, s0
	s_waitcnt lgkmcnt(6)
	v_mul_f32_e32 v82, v37, v7
	v_mul_f32_e32 v37, v37, v6
	s_waitcnt lgkmcnt(5)
	v_mul_f32_e32 v83, v39, v25
	v_mul_f32_e32 v39, v39, v24
	s_waitcnt lgkmcnt(0)
	v_fmac_f32_e32 v82, v36, v6
	v_mul_f32_e32 v6, v53, v20
	v_fma_f32 v7, v36, v7, -v37
	v_mul_f32_e32 v36, v53, v21
	v_fmac_f32_e32 v83, v38, v24
	v_fma_f32 v24, v38, v25, -v39
	v_fma_f32 v21, v52, v21, -v6
	v_mul_f32_e32 v6, v33, v22
	v_mul_f32_e32 v25, v55, v27
	v_fmac_f32_e32 v36, v52, v20
	v_mul_f32_e32 v20, v55, v26
	v_mul_f32_e32 v37, v33, v23
	v_fma_f32 v23, v32, v23, -v6
	v_mul_f32_e32 v6, v49, v0
	v_fmac_f32_e32 v25, v54, v26
	v_fma_f32 v26, v54, v27, -v20
	v_mul_f32_e32 v27, v35, v17
	v_fmac_f32_e32 v37, v32, v22
	v_mul_f32_e32 v32, v49, v1
	v_fma_f32 v1, v48, v1, -v6
	v_mul_f32_e32 v6, v45, v2
	v_mul_f32_e32 v20, v35, v16
	v_fmac_f32_e32 v27, v34, v16
	v_mul_f32_e32 v35, v45, v3
	v_mul_f32_e32 v39, v41, v79
	v_fma_f32 v3, v44, v3, -v6
	v_mul_f32_e32 v6, v41, v78
	v_mul_f32_e32 v41, v43, v87
	;; [unrolled: 1-line block ×3, first 2 shown]
	v_fma_f32 v33, v34, v17, -v20
	v_mul_f32_e32 v34, v51, v19
	v_fmac_f32_e32 v32, v48, v0
	v_mul_f32_e32 v0, v51, v18
	v_fmac_f32_e32 v39, v40, v78
	v_fma_f32 v40, v40, v79, -v6
	v_add_f32_e32 v6, v82, v83
	v_fmac_f32_e32 v41, v42, v86
	v_add_f32_e32 v17, v12, v82
	v_fma_f32 v42, v42, v87, -v16
	v_add_f32_e32 v16, v7, v24
	v_fmac_f32_e32 v34, v50, v18
	v_fma_f32 v0, v50, v19, -v0
	v_fma_f32 v6, -0.5, v6, v12
	v_sub_f32_e32 v18, v7, v24
	v_add_f32_e32 v12, v17, v83
	v_add_f32_e32 v17, v13, v7
	v_fma_f32 v7, -0.5, v16, v13
	v_sub_f32_e32 v19, v82, v83
	v_fmamk_f32 v16, v18, 0xbf5db3d7, v6
	v_fmac_f32_e32 v6, 0x3f5db3d7, v18
	v_add_f32_e32 v13, v17, v24
	v_add_f32_e32 v18, v36, v25
	v_fmamk_f32 v17, v19, 0x3f5db3d7, v7
	v_fmac_f32_e32 v7, 0xbf5db3d7, v19
	v_add_f32_e32 v19, v21, v26
	v_add_f32_e32 v20, v14, v36
	v_fma_f32 v14, -0.5, v18, v14
	v_sub_f32_e32 v22, v21, v26
	v_add_f32_e32 v21, v15, v21
	v_fmac_f32_e32 v15, -0.5, v19
	v_sub_f32_e32 v24, v36, v25
	v_add_f32_e32 v18, v20, v25
	v_fmamk_f32 v20, v22, 0xbf5db3d7, v14
	v_fmac_f32_e32 v14, 0x3f5db3d7, v22
	v_add_f32_e32 v19, v21, v26
	v_add_f32_e32 v22, v37, v27
	v_fmamk_f32 v21, v24, 0x3f5db3d7, v15
	v_add_f32_e32 v25, v8, v37
	v_fmac_f32_e32 v15, 0xbf5db3d7, v24
	v_add_f32_e32 v24, v23, v33
	v_mul_f32_e32 v38, v47, v81
	v_fma_f32 v8, -0.5, v22, v8
	v_sub_f32_e32 v26, v23, v33
	v_add_f32_e32 v22, v25, v27
	v_add_f32_e32 v23, v9, v23
	v_fma_f32 v9, -0.5, v24, v9
	v_sub_f32_e32 v27, v37, v27
	v_fmac_f32_e32 v35, v44, v2
	v_mul_f32_e32 v2, v47, v80
	v_fmac_f32_e32 v38, v46, v80
	v_fmamk_f32 v24, v26, 0xbf5db3d7, v8
	v_fmac_f32_e32 v8, 0x3f5db3d7, v26
	v_add_f32_e32 v23, v23, v33
	v_add_f32_e32 v26, v32, v34
	v_fmamk_f32 v25, v27, 0x3f5db3d7, v9
	v_add_f32_e32 v33, v10, v32
	v_fmac_f32_e32 v9, 0xbf5db3d7, v27
	v_add_f32_e32 v27, v1, v0
	v_sub_f32_e32 v36, v1, v0
	v_add_f32_e32 v1, v11, v1
	v_fma_f32 v2, v46, v81, -v2
	v_fma_f32 v10, -0.5, v26, v10
	v_add_f32_e32 v26, v33, v34
	v_fmac_f32_e32 v11, -0.5, v27
	v_sub_f32_e32 v34, v32, v34
	v_add_f32_e32 v27, v1, v0
	v_add_f32_e32 v0, v35, v38
	;; [unrolled: 1-line block ×3, first 2 shown]
	v_fmamk_f32 v32, v36, 0xbf5db3d7, v10
	v_fmac_f32_e32 v10, 0x3f5db3d7, v36
	v_fmamk_f32 v33, v34, 0x3f5db3d7, v11
	v_fmac_f32_e32 v11, 0xbf5db3d7, v34
	v_add_f32_e32 v36, v3, v2
	v_fma_f32 v4, -0.5, v0, v4
	v_sub_f32_e32 v0, v3, v2
	v_add_f32_e32 v34, v1, v38
	v_add_f32_e32 v1, v5, v3
	v_fmac_f32_e32 v5, -0.5, v36
	v_sub_f32_e32 v3, v35, v38
	v_fmamk_f32 v36, v0, 0xbf5db3d7, v4
	v_fmac_f32_e32 v4, 0x3f5db3d7, v0
	v_add_f32_e32 v35, v1, v2
	v_add_f32_e32 v0, v39, v41
	;; [unrolled: 1-line block ×3, first 2 shown]
	v_fmamk_f32 v37, v3, 0x3f5db3d7, v5
	v_fmac_f32_e32 v5, 0xbf5db3d7, v3
	v_add_f32_e32 v2, v76, v39
	v_fmac_f32_e32 v76, -0.5, v0
	v_sub_f32_e32 v3, v40, v42
	v_add_f32_e32 v38, v77, v40
	v_fmac_f32_e32 v77, -0.5, v1
	v_sub_f32_e32 v39, v39, v41
	v_add_f32_e32 v0, v2, v41
	v_fmamk_f32 v2, v3, 0xbf5db3d7, v76
	v_fmac_f32_e32 v76, 0x3f5db3d7, v3
	v_add_f32_e32 v1, v38, v42
	v_fmamk_f32 v3, v39, 0x3f5db3d7, v77
	v_fmac_f32_e32 v77, 0xbf5db3d7, v39
	s_barrier
	buffer_gl0_inv
	ds_write2_b64 v153, v[12:13], v[16:17] offset1:48
	ds_write_b64 v153, v[6:7] offset:768
	ds_write2_b64 v170, v[18:19], v[20:21] offset1:48
	ds_write_b64 v170, v[14:15] offset:768
	ds_write_b64 v153, v[22:23] offset:1200
	v_add_nc_u32_e32 v6, 0x800, v169
	ds_write_b64 v167, v[24:25] offset:1536
	ds_write_b64 v153, v[8:9] offset:1968
	ds_write2_b64 v168, v[26:27], v[32:33] offset1:48
	ds_write_b64 v168, v[10:11] offset:768
	ds_write2_b64 v6, v[34:35], v[36:37] offset0:32 offset1:80
	ds_write_b64 v169, v[4:5] offset:3072
	s_and_saveexec_b32 s0, vcc_lo
	s_cbranch_execz .LBB0_25
; %bb.24:
	v_lshl_add_u32 v4, v166, 3, v156
	v_add_nc_u32_e32 v5, 0x800, v4
	ds_write2_b64 v5, v[0:1], v[2:3] offset0:32 offset1:80
	ds_write_b64 v4, v[76:77] offset:3072
.LBB0_25:
	s_or_b32 exec_lo, exec_lo, s0
	v_add_nc_u32_e32 v38, 0x800, v153
	s_waitcnt lgkmcnt(0)
	s_barrier
	buffer_gl0_inv
	ds_read2_b64 v[12:15], v153 offset1:27
	ds_read2_b64 v[4:7], v153 offset0:108 offset1:144
	ds_read2_b64 v[32:35], v38 offset0:32 offset1:59
	;; [unrolled: 1-line block ×6, first 2 shown]
	ds_read_b64 v[36:37], v153 offset:3168
	v_add_nc_u32_e32 v39, 0x360, v151
	s_and_saveexec_b32 s0, vcc_lo
	s_cbranch_execz .LBB0_27
; %bb.26:
	v_add_nc_u32_e32 v0, 0x400, v153
	ds_read2_b64 v[0:3], v0 offset0:7 offset1:151
	ds_read_b64 v[76:77], v153 offset:3384
.LBB0_27:
	s_or_b32 exec_lo, exec_lo, s0
	s_waitcnt lgkmcnt(6)
	v_mul_f32_e32 v41, v61, v6
	v_mul_f32_e32 v40, v61, v7
	s_waitcnt lgkmcnt(5)
	v_mul_f32_e32 v42, v63, v33
	v_mul_f32_e32 v43, v63, v32
	s_waitcnt lgkmcnt(1)
	v_mul_f32_e32 v46, v57, v19
	v_fma_f32 v7, v60, v7, -v41
	v_mul_f32_e32 v41, v73, v25
	v_fmac_f32_e32 v40, v60, v6
	v_mul_f32_e32 v6, v73, v24
	v_fmac_f32_e32 v42, v62, v32
	v_fma_f32 v32, v62, v33, -v43
	v_fmac_f32_e32 v41, v72, v24
	v_mul_f32_e32 v24, v75, v34
	v_mul_f32_e32 v33, v75, v35
	v_fma_f32 v25, v72, v25, -v6
	v_mul_f32_e32 v6, v69, v26
	v_mul_f32_e32 v43, v69, v27
	v_fma_f32 v24, v74, v35, -v24
	v_mul_f32_e32 v35, v65, v17
	s_waitcnt lgkmcnt(0)
	v_mul_f32_e32 v48, v59, v37
	v_fma_f32 v27, v68, v27, -v6
	v_mul_f32_e32 v6, v65, v16
	v_fmac_f32_e32 v33, v74, v34
	v_fmac_f32_e32 v35, v64, v16
	v_mul_f32_e32 v16, v67, v22
	v_fmac_f32_e32 v46, v56, v18
	v_fma_f32 v45, v64, v17, -v6
	v_mul_f32_e32 v6, v57, v18
	v_add_f32_e32 v17, v12, v40
	v_fma_f32 v47, v66, v23, -v16
	v_mul_f32_e32 v16, v59, v36
	v_sub_f32_e32 v18, v7, v32
	v_fma_f32 v49, v56, v19, -v6
	v_add_f32_e32 v6, v40, v42
	v_sub_f32_e32 v19, v40, v42
	v_fma_f32 v37, v58, v37, -v16
	v_add_f32_e32 v16, v7, v32
	v_add_f32_e32 v7, v13, v7
	v_fma_f32 v12, -0.5, v6, v12
	v_mul_f32_e32 v34, v71, v21
	v_fmac_f32_e32 v43, v68, v26
	v_fma_f32 v13, -0.5, v16, v13
	v_mul_f32_e32 v26, v71, v20
	v_mul_f32_e32 v44, v67, v23
	v_add_f32_e32 v6, v17, v42
	v_fmamk_f32 v16, v18, 0xbf5db3d7, v12
	v_fmac_f32_e32 v12, 0x3f5db3d7, v18
	v_add_f32_e32 v18, v41, v33
	v_fmamk_f32 v17, v19, 0x3f5db3d7, v13
	v_fmac_f32_e32 v13, 0xbf5db3d7, v19
	v_add_f32_e32 v19, v25, v24
	v_fmac_f32_e32 v34, v70, v20
	v_fma_f32 v26, v70, v21, -v26
	v_fmac_f32_e32 v44, v66, v22
	v_add_f32_e32 v20, v14, v41
	v_fma_f32 v14, -0.5, v18, v14
	v_sub_f32_e32 v21, v25, v24
	v_add_f32_e32 v22, v15, v25
	v_fmac_f32_e32 v15, -0.5, v19
	v_sub_f32_e32 v23, v41, v33
	v_add_f32_e32 v18, v20, v33
	v_fmamk_f32 v20, v21, 0xbf5db3d7, v14
	v_fmac_f32_e32 v14, 0x3f5db3d7, v21
	v_add_f32_e32 v19, v22, v24
	v_add_f32_e32 v22, v43, v34
	v_fmamk_f32 v21, v23, 0x3f5db3d7, v15
	v_fmac_f32_e32 v15, 0xbf5db3d7, v23
	v_add_f32_e32 v23, v27, v26
	v_add_f32_e32 v7, v7, v32
	;; [unrolled: 1-line block ×3, first 2 shown]
	v_fma_f32 v8, -0.5, v22, v8
	v_sub_f32_e32 v25, v27, v26
	v_add_f32_e32 v27, v9, v27
	v_fma_f32 v9, -0.5, v23, v9
	v_sub_f32_e32 v32, v43, v34
	v_add_f32_e32 v22, v24, v34
	v_fmamk_f32 v24, v25, 0xbf5db3d7, v8
	v_fmac_f32_e32 v8, 0x3f5db3d7, v25
	v_add_f32_e32 v23, v27, v26
	v_add_f32_e32 v26, v35, v44
	v_fmamk_f32 v25, v32, 0x3f5db3d7, v9
	v_add_f32_e32 v27, v10, v35
	v_fmac_f32_e32 v9, 0xbf5db3d7, v32
	v_add_f32_e32 v32, v45, v47
	v_fmac_f32_e32 v48, v58, v36
	v_fma_f32 v10, -0.5, v26, v10
	v_sub_f32_e32 v33, v45, v47
	v_add_f32_e32 v26, v27, v44
	v_add_f32_e32 v27, v11, v45
	v_fmac_f32_e32 v11, -0.5, v32
	v_sub_f32_e32 v34, v35, v44
	v_add_f32_e32 v35, v46, v48
	v_fmamk_f32 v32, v33, 0xbf5db3d7, v10
	v_fmac_f32_e32 v10, 0x3f5db3d7, v33
	v_add_f32_e32 v36, v4, v46
	v_fmamk_f32 v33, v34, 0x3f5db3d7, v11
	v_fmac_f32_e32 v11, 0xbf5db3d7, v34
	v_add_f32_e32 v34, v49, v37
	v_fma_f32 v4, -0.5, v35, v4
	v_sub_f32_e32 v35, v49, v37
	v_add_f32_e32 v40, v5, v49
	v_sub_f32_e32 v41, v46, v48
	v_fmac_f32_e32 v5, -0.5, v34
	v_add_f32_e32 v27, v27, v47
	ds_write2_b64 v153, v[6:7], v[18:19] offset1:27
	v_add_nc_u32_e32 v6, 0x400, v153
	v_add_f32_e32 v34, v36, v48
	v_fmamk_f32 v36, v35, 0xbf5db3d7, v4
	v_fmac_f32_e32 v4, 0x3f5db3d7, v35
	v_add_f32_e32 v35, v40, v37
	v_fmamk_f32 v37, v41, 0x3f5db3d7, v5
	v_fmac_f32_e32 v5, 0xbf5db3d7, v41
	v_add_nc_u32_e32 v7, 0x400, v39
	ds_write2_b64 v153, v[20:21], v[24:25] offset0:171 offset1:198
	ds_write2_b64 v38, v[14:15], v[8:9] offset0:59 offset1:86
	;; [unrolled: 1-line block ×4, first 2 shown]
	ds_write_b64 v153, v[10:11] offset:2952
	ds_write2_b64 v153, v[34:35], v[16:17] offset0:108 offset1:144
	ds_write2_b64 v7, v[36:37], v[4:5] offset0:16 offset1:160
	s_and_saveexec_b32 s0, vcc_lo
	s_cbranch_execz .LBB0_29
; %bb.28:
	v_mul_f32_e32 v4, v29, v2
	v_mul_f32_e32 v5, v31, v76
	;; [unrolled: 1-line block ×4, first 2 shown]
	v_fma_f32 v3, v28, v3, -v4
	v_fma_f32 v4, v30, v77, -v5
	v_fmac_f32_e32 v7, v28, v2
	v_fmac_f32_e32 v8, v30, v76
	v_add_f32_e32 v10, v1, v3
	v_add_f32_e32 v2, v3, v4
	v_sub_f32_e32 v11, v3, v4
	v_add_f32_e32 v5, v7, v8
	v_sub_f32_e32 v9, v7, v8
	v_add_f32_e32 v7, v0, v7
	v_fma_f32 v1, -0.5, v2, v1
	v_add_f32_e32 v3, v10, v4
	v_fma_f32 v0, -0.5, v5, v0
	v_add_f32_e32 v2, v7, v8
	v_fmamk_f32 v5, v9, 0xbf5db3d7, v1
	v_fmac_f32_e32 v1, 0x3f5db3d7, v9
	v_fmamk_f32 v4, v11, 0x3f5db3d7, v0
	v_fmac_f32_e32 v0, 0xbf5db3d7, v11
	ds_write2_b64 v6, v[2:3], v[0:1] offset0:7 offset1:151
	ds_write_b64 v153, v[4:5] offset:3384
.LBB0_29:
	s_or_b32 exec_lo, exec_lo, s0
	s_waitcnt lgkmcnt(0)
	s_barrier
	buffer_gl0_inv
	ds_read2_b64 v[0:3], v153 offset1:27
	ds_read2_b64 v[4:7], v153 offset0:108 offset1:144
	v_add_nc_u32_e32 v37, 0x800, v153
	v_mad_u64_u32 v[20:21], null, s10, v124, 0
	v_mad_u64_u32 v[22:23], null, s8, v154, 0
	ds_read2_b64 v[8:11], v37 offset0:32 offset1:59
	v_mad_u64_u32 v[24:25], null, s8, v155, 0
	s_mov_b32 s2, 0xbda12f68
	s_mov_b32 s3, 0x3f62f684
	s_mul_i32 s1, s9, 0x90
	v_mad_u64_u32 v[28:29], null, s11, v124, v[21:22]
	s_mul_hi_u32 s4, s8, 0x90
	v_mad_u64_u32 v[29:30], null, s9, v154, v[23:24]
	s_mul_i32 s0, s8, 0x90
	s_add_i32 s1, s4, s1
	s_waitcnt lgkmcnt(2)
	v_mul_f32_e32 v26, v148, v1
	v_mul_f32_e32 v12, v148, v0
	s_waitcnt lgkmcnt(1)
	v_mul_f32_e32 v32, v144, v6
	v_mul_f32_e32 v21, v144, v7
	;; [unrolled: 1-line block ×3, first 2 shown]
	v_fmac_f32_e32 v26, v147, v0
	v_fma_f32 v27, v147, v1, -v12
	ds_read2_b64 v[12:15], v153 offset0:171 offset1:198
	ds_read2_b64 v[16:19], v153 offset0:54 offset1:81
	v_fma_f32 v23, v143, v7, -v32
	v_fmac_f32_e32 v21, v143, v6
	v_cvt_f64_f32_e32 v[0:1], v26
	v_cvt_f64_f32_e32 v[26:27], v27
	s_waitcnt lgkmcnt(2)
	v_mul_f32_e32 v33, v146, v9
	v_mul_f32_e32 v34, v146, v8
	v_fmac_f32_e32 v35, v139, v2
	v_cvt_f64_f32_e32 v[6:7], v21
	v_mul_f32_e32 v38, v142, v10
	v_fmac_f32_e32 v33, v145, v8
	v_fma_f32 v21, v145, v9, -v34
	s_lshl_b64 s[4:5], s[0:1], 3
	s_mul_i32 s1, s9, 0xfffffefb
	v_cvt_f64_f32_e32 v[8:9], v33
	v_cvt_f64_f32_e32 v[33:34], v21
	v_mov_b32_e32 v21, v28
	s_waitcnt lgkmcnt(1)
	v_mul_f32_e32 v36, v134, v12
	v_lshlrev_b64 v[20:21], 3, v[20:21]
	v_mul_f64 v[0:1], v[0:1], s[2:3]
	v_mad_u64_u32 v[30:31], null, s9, v155, v[25:26]
	v_mul_f64 v[25:26], v[26:27], s[2:3]
	v_cvt_f64_f32_e32 v[31:32], v23
	v_mul_f32_e32 v23, v140, v2
	v_mul_f32_e32 v27, v134, v13
	v_mul_f64 v[6:7], v[6:7], s[2:3]
	v_fma_f32 v23, v139, v3, -v23
	v_fmac_f32_e32 v27, v133, v12
	v_cvt_f64_f32_e32 v[2:3], v35
	v_fma_f32 v35, v133, v13, -v36
	v_mul_f64 v[8:9], v[8:9], s[2:3]
	v_cvt_f64_f32_e32 v[12:13], v23
	v_cvt_f64_f32_e32 v[27:28], v27
	v_mov_b32_e32 v23, v29
	v_cvt_f64_f32_e32 v[35:36], v35
	v_mul_f32_e32 v29, v142, v11
	v_cvt_f32_f64_e32 v0, v[0:1]
	v_lshlrev_b64 v[22:23], 3, v[22:23]
	v_fmac_f32_e32 v29, v141, v10
	v_cvt_f32_f64_e32 v1, v[25:26]
	v_mul_f64 v[31:32], v[31:32], s[2:3]
	v_fma_f32 v25, v141, v11, -v38
	v_mul_f64 v[10:11], v[33:34], s[2:3]
	v_add_co_u32 v33, s0, s6, v20
	v_add_co_ci_u32_e64 v34, s0, s7, v21, s0
	v_cvt_f64_f32_e32 v[20:21], v29
	v_mul_f64 v[2:3], v[2:3], s[2:3]
	v_add_co_u32 v22, s0, v33, v22
	v_mul_f64 v[12:13], v[12:13], s[2:3]
	v_mul_f64 v[26:27], v[27:28], s[2:3]
	v_add_co_ci_u32_e64 v23, s0, v34, v23, s0
	v_mul_f64 v[28:29], v[35:36], s[2:3]
	v_cvt_f32_f64_e32 v6, v[6:7]
	v_cvt_f32_f64_e32 v8, v[8:9]
	global_store_dwordx2 v[22:23], v[0:1], off
	s_waitcnt lgkmcnt(0)
	v_mul_f32_e32 v0, v136, v17
	v_mul_f32_e32 v1, v136, v16
	v_cvt_f32_f64_e32 v7, v[31:32]
	v_add_co_u32 v22, s0, v22, s4
	v_fmac_f32_e32 v0, v135, v16
	v_fma_f32 v1, v135, v17, -v1
	v_cvt_f32_f64_e32 v9, v[10:11]
	v_cvt_f64_f32_e32 v[31:32], v25
	v_add_co_ci_u32_e64 v23, s0, s5, v23, s0
	v_cvt_f64_f32_e32 v[16:17], v0
	v_cvt_f32_f64_e32 v10, v[2:3]
	v_cvt_f32_f64_e32 v26, v[26:27]
	v_mov_b32_e32 v25, v30
	v_cvt_f32_f64_e32 v27, v[28:29]
	v_cvt_f64_f32_e32 v[28:29], v1
	ds_read2_b64 v[0:3], v37 offset0:86 offset1:113
	v_cvt_f32_f64_e32 v11, v[12:13]
	v_mul_f64 v[20:21], v[20:21], s[2:3]
	v_mad_u64_u32 v[12:13], null, 0xfffffc58, s8, v[22:23]
	v_lshlrev_b64 v[24:25], 3, v[24:25]
	s_mul_i32 s0, s9, 0xfffffc58
	global_store_dwordx2 v[22:23], v[6:7], off
	s_sub_i32 s0, s0, s8
	v_add_nc_u32_e32 v13, s0, v13
	v_add_co_u32 v22, s0, v33, v24
	v_add_co_ci_u32_e64 v23, s0, v34, v25, s0
	v_add_co_u32 v24, s0, v12, s4
	v_mul_f64 v[6:7], v[31:32], s[2:3]
	global_store_dwordx2 v[22:23], v[8:9], off
	s_waitcnt lgkmcnt(0)
	v_mul_f32_e32 v22, v138, v0
	v_add_co_ci_u32_e64 v25, s0, s5, v13, s0
	v_mul_f64 v[8:9], v[16:17], s[2:3]
	global_store_dwordx2 v[12:13], v[10:11], off
	global_store_dwordx2 v[24:25], v[26:27], off
	v_cvt_f32_f64_e32 v12, v[20:21]
	v_fma_f32 v20, v137, v1, -v22
	v_mul_f32_e32 v16, v128, v15
	v_mul_f32_e32 v13, v128, v14
	;; [unrolled: 1-line block ×4, first 2 shown]
	v_cvt_f64_f32_e32 v[20:21], v20
	v_fmac_f32_e32 v16, v127, v14
	v_fma_f32 v14, v127, v15, -v13
	v_add_co_u32 v22, s0, v24, s4
	v_fmac_f32_e32 v17, v137, v0
	v_cvt_f64_f32_e32 v[0:1], v16
	v_cvt_f64_f32_e32 v[14:15], v14
	v_cvt_f32_f64_e32 v13, v[6:7]
	v_mul_f64 v[10:11], v[28:29], s[2:3]
	v_mul_f32_e32 v27, v126, v18
	v_fmac_f32_e32 v26, v125, v18
	v_cvt_f64_f32_e32 v[16:17], v17
	v_cvt_f32_f64_e32 v24, v[8:9]
	ds_read2_b64 v[6:9], v153 offset0:225 offset1:252
	v_fma_f32 v28, v125, v19, -v27
	v_mul_f32_e32 v34, v121, v5
	v_mul_f32_e32 v32, v123, v3
	;; [unrolled: 1-line block ×3, first 2 shown]
	v_add_co_ci_u32_e64 v23, s0, s5, v25, s0
	v_cvt_f64_f32_e32 v[28:29], v28
	v_mul_f64 v[18:19], v[20:21], s[2:3]
	v_cvt_f64_f32_e32 v[20:21], v26
	ds_read_b64 v[26:27], v153 offset:3168
	v_fmac_f32_e32 v34, v120, v4
	v_mul_f32_e32 v4, v121, v4
	v_fmac_f32_e32 v32, v122, v2
	v_mul_f64 v[0:1], v[0:1], s[2:3]
	v_mul_f64 v[14:15], v[14:15], s[2:3]
	v_fma_f32 v33, v122, v3, -v33
	v_cvt_f32_f64_e32 v25, v[10:11]
	v_fma_f32 v4, v120, v5, -v4
	s_mul_hi_u32 s0, s8, 0xfffffefb
	s_waitcnt lgkmcnt(1)
	v_mul_f32_e32 v30, v119, v7
	v_mul_f32_e32 v31, v119, v6
	;; [unrolled: 1-line block ×4, first 2 shown]
	s_sub_i32 s0, s0, s8
	v_fmac_f32_e32 v30, v118, v6
	v_fma_f32 v6, v118, v7, -v31
	v_fmac_f32_e32 v36, v129, v8
	v_fma_f32 v37, v129, v9, -v37
	v_mul_f64 v[16:17], v[16:17], s[2:3]
	s_waitcnt lgkmcnt(0)
	v_mul_f32_e32 v38, v132, v27
	v_mul_f32_e32 v39, v132, v26
	v_cvt_f64_f32_e32 v[2:3], v30
	v_cvt_f64_f32_e32 v[6:7], v6
	v_cvt_f64_f32_e32 v[30:31], v32
	v_fmac_f32_e32 v38, v131, v26
	v_fma_f32 v39, v131, v27, -v39
	v_cvt_f64_f32_e32 v[32:33], v33
	v_cvt_f64_f32_e32 v[34:35], v34
	s_add_i32 s1, s0, s1
	s_mul_i32 s0, s8, 0xfffffefb
	v_cvt_f64_f32_e32 v[4:5], v4
	v_cvt_f64_f32_e32 v[8:9], v36
	;; [unrolled: 1-line block ×3, first 2 shown]
	s_lshl_b64 s[6:7], s[0:1], 3
	v_cvt_f64_f32_e32 v[36:37], v38
	v_cvt_f64_f32_e32 v[38:39], v39
	v_add_co_u32 v10, s0, v22, s6
	v_add_co_ci_u32_e64 v11, s0, s7, v23, s0
	global_store_dwordx2 v[22:23], v[12:13], off
	global_store_dwordx2 v[10:11], v[24:25], off
	v_cvt_f32_f64_e32 v0, v[0:1]
	v_cvt_f32_f64_e32 v1, v[14:15]
	v_mul_f64 v[12:13], v[20:21], s[2:3]
	v_mul_f64 v[14:15], v[28:29], s[2:3]
	;; [unrolled: 1-line block ×4, first 2 shown]
	v_cvt_f32_f64_e32 v16, v[16:17]
	v_cvt_f32_f64_e32 v17, v[18:19]
	v_mul_f64 v[18:19], v[30:31], s[2:3]
	v_mul_f64 v[20:21], v[32:33], s[2:3]
	;; [unrolled: 1-line block ×3, first 2 shown]
	v_add_co_u32 v10, s0, v10, s4
	v_mul_f64 v[4:5], v[4:5], s[2:3]
	v_mul_f64 v[8:9], v[8:9], s[2:3]
	;; [unrolled: 1-line block ×3, first 2 shown]
	v_add_co_ci_u32_e64 v11, s0, s5, v11, s0
	v_mul_f64 v[26:27], v[36:37], s[2:3]
	v_mul_f64 v[28:29], v[38:39], s[2:3]
	v_add_co_u32 v30, s0, v10, s4
	v_add_co_ci_u32_e64 v31, s0, s5, v11, s0
	v_cvt_f32_f64_e32 v12, v[12:13]
	v_cvt_f32_f64_e32 v13, v[14:15]
	v_add_co_u32 v14, s0, v30, s6
	v_add_co_ci_u32_e64 v15, s0, s7, v31, s0
	v_cvt_f32_f64_e32 v2, v[2:3]
	v_cvt_f32_f64_e32 v3, v[6:7]
	;; [unrolled: 4-line block ×3, first 2 shown]
	v_cvt_f32_f64_e32 v20, v[22:23]
	v_add_co_u32 v22, s0, v6, s4
	v_cvt_f32_f64_e32 v21, v[4:5]
	v_add_co_ci_u32_e64 v23, s0, s5, v7, s0
	v_cvt_f32_f64_e32 v4, v[8:9]
	v_cvt_f32_f64_e32 v5, v[24:25]
	;; [unrolled: 1-line block ×4, first 2 shown]
	global_store_dwordx2 v[10:11], v[0:1], off
	v_add_co_u32 v10, s0, v22, s6
	v_add_co_ci_u32_e64 v11, s0, s7, v23, s0
	global_store_dwordx2 v[30:31], v[16:17], off
	v_add_co_u32 v16, s0, v10, s4
	v_add_co_ci_u32_e64 v17, s0, s5, v11, s0
	;; [unrolled: 3-line block ×3, first 2 shown]
	global_store_dwordx2 v[6:7], v[2:3], off
	global_store_dwordx2 v[22:23], v[18:19], off
	global_store_dwordx2 v[10:11], v[20:21], off
	global_store_dwordx2 v[16:17], v[4:5], off
	global_store_dwordx2 v[0:1], v[8:9], off
	s_and_b32 exec_lo, exec_lo, vcc_lo
	s_cbranch_execz .LBB0_31
; %bb.30:
	global_load_dwordx2 v[6:7], v[114:115], off offset:1080
	v_add_nc_u32_e32 v2, 0x400, v153
	v_add_co_u32 v0, vcc_lo, v0, s6
	v_add_co_ci_u32_e32 v1, vcc_lo, s7, v1, vcc_lo
	ds_read2_b64 v[2:5], v2 offset0:7 offset1:151
	s_waitcnt vmcnt(0) lgkmcnt(0)
	v_mul_f32_e32 v8, v3, v7
	v_mul_f32_e32 v7, v2, v7
	v_fmac_f32_e32 v8, v2, v6
	v_fma_f32 v6, v6, v3, -v7
	v_cvt_f64_f32_e32 v[2:3], v8
	v_cvt_f64_f32_e32 v[6:7], v6
	v_mul_f64 v[2:3], v[2:3], s[2:3]
	v_mul_f64 v[6:7], v[6:7], s[2:3]
	v_cvt_f32_f64_e32 v2, v[2:3]
	v_cvt_f32_f64_e32 v3, v[6:7]
	global_store_dwordx2 v[0:1], v[2:3], off
	global_load_dwordx2 v[2:3], v[116:117], off offset:184
	v_add_co_u32 v0, vcc_lo, v0, s4
	v_add_co_ci_u32_e32 v1, vcc_lo, s5, v1, vcc_lo
	s_waitcnt vmcnt(0)
	v_mul_f32_e32 v6, v5, v3
	v_mul_f32_e32 v3, v4, v3
	v_fmac_f32_e32 v6, v4, v2
	v_fma_f32 v4, v2, v5, -v3
	v_cvt_f64_f32_e32 v[2:3], v6
	v_cvt_f64_f32_e32 v[4:5], v4
	v_mul_f64 v[2:3], v[2:3], s[2:3]
	v_mul_f64 v[4:5], v[4:5], s[2:3]
	v_cvt_f32_f64_e32 v2, v[2:3]
	v_cvt_f32_f64_e32 v3, v[4:5]
	ds_read_b64 v[4:5], v153 offset:3384
	global_store_dwordx2 v[0:1], v[2:3], off
	global_load_dwordx2 v[2:3], v[116:117], off offset:1336
	v_add_co_u32 v0, vcc_lo, v0, s4
	v_add_co_ci_u32_e32 v1, vcc_lo, s5, v1, vcc_lo
	s_waitcnt vmcnt(0) lgkmcnt(0)
	v_mul_f32_e32 v6, v5, v3
	v_mul_f32_e32 v3, v4, v3
	v_fmac_f32_e32 v6, v4, v2
	v_fma_f32 v4, v2, v5, -v3
	v_cvt_f64_f32_e32 v[2:3], v6
	v_cvt_f64_f32_e32 v[4:5], v4
	v_mul_f64 v[2:3], v[2:3], s[2:3]
	v_mul_f64 v[4:5], v[4:5], s[2:3]
	v_cvt_f32_f64_e32 v2, v[2:3]
	v_cvt_f32_f64_e32 v3, v[4:5]
	global_store_dwordx2 v[0:1], v[2:3], off
.LBB0_31:
	s_endpgm
	.section	.rodata,"a",@progbits
	.p2align	6, 0x0
	.amdhsa_kernel bluestein_single_back_len432_dim1_sp_op_CI_CI
		.amdhsa_group_segment_fixed_size 6912
		.amdhsa_private_segment_fixed_size 0
		.amdhsa_kernarg_size 104
		.amdhsa_user_sgpr_count 6
		.amdhsa_user_sgpr_private_segment_buffer 1
		.amdhsa_user_sgpr_dispatch_ptr 0
		.amdhsa_user_sgpr_queue_ptr 0
		.amdhsa_user_sgpr_kernarg_segment_ptr 1
		.amdhsa_user_sgpr_dispatch_id 0
		.amdhsa_user_sgpr_flat_scratch_init 0
		.amdhsa_user_sgpr_private_segment_size 0
		.amdhsa_wavefront_size32 1
		.amdhsa_uses_dynamic_stack 0
		.amdhsa_system_sgpr_private_segment_wavefront_offset 0
		.amdhsa_system_sgpr_workgroup_id_x 1
		.amdhsa_system_sgpr_workgroup_id_y 0
		.amdhsa_system_sgpr_workgroup_id_z 0
		.amdhsa_system_sgpr_workgroup_info 0
		.amdhsa_system_vgpr_workitem_id 0
		.amdhsa_next_free_vgpr 214
		.amdhsa_next_free_sgpr 18
		.amdhsa_reserve_vcc 1
		.amdhsa_reserve_flat_scratch 0
		.amdhsa_float_round_mode_32 0
		.amdhsa_float_round_mode_16_64 0
		.amdhsa_float_denorm_mode_32 3
		.amdhsa_float_denorm_mode_16_64 3
		.amdhsa_dx10_clamp 1
		.amdhsa_ieee_mode 1
		.amdhsa_fp16_overflow 0
		.amdhsa_workgroup_processor_mode 1
		.amdhsa_memory_ordered 1
		.amdhsa_forward_progress 0
		.amdhsa_shared_vgpr_count 0
		.amdhsa_exception_fp_ieee_invalid_op 0
		.amdhsa_exception_fp_denorm_src 0
		.amdhsa_exception_fp_ieee_div_zero 0
		.amdhsa_exception_fp_ieee_overflow 0
		.amdhsa_exception_fp_ieee_underflow 0
		.amdhsa_exception_fp_ieee_inexact 0
		.amdhsa_exception_int_div_zero 0
	.end_amdhsa_kernel
	.text
.Lfunc_end0:
	.size	bluestein_single_back_len432_dim1_sp_op_CI_CI, .Lfunc_end0-bluestein_single_back_len432_dim1_sp_op_CI_CI
                                        ; -- End function
	.section	.AMDGPU.csdata,"",@progbits
; Kernel info:
; codeLenInByte = 13196
; NumSgprs: 20
; NumVgprs: 214
; ScratchSize: 0
; MemoryBound: 0
; FloatMode: 240
; IeeeMode: 1
; LDSByteSize: 6912 bytes/workgroup (compile time only)
; SGPRBlocks: 2
; VGPRBlocks: 26
; NumSGPRsForWavesPerEU: 20
; NumVGPRsForWavesPerEU: 214
; Occupancy: 4
; WaveLimiterHint : 1
; COMPUTE_PGM_RSRC2:SCRATCH_EN: 0
; COMPUTE_PGM_RSRC2:USER_SGPR: 6
; COMPUTE_PGM_RSRC2:TRAP_HANDLER: 0
; COMPUTE_PGM_RSRC2:TGID_X_EN: 1
; COMPUTE_PGM_RSRC2:TGID_Y_EN: 0
; COMPUTE_PGM_RSRC2:TGID_Z_EN: 0
; COMPUTE_PGM_RSRC2:TIDIG_COMP_CNT: 0
	.text
	.p2alignl 6, 3214868480
	.fill 48, 4, 3214868480
	.type	__hip_cuid_51a26e27a061afb3,@object ; @__hip_cuid_51a26e27a061afb3
	.section	.bss,"aw",@nobits
	.globl	__hip_cuid_51a26e27a061afb3
__hip_cuid_51a26e27a061afb3:
	.byte	0                               ; 0x0
	.size	__hip_cuid_51a26e27a061afb3, 1

	.ident	"AMD clang version 19.0.0git (https://github.com/RadeonOpenCompute/llvm-project roc-6.4.0 25133 c7fe45cf4b819c5991fe208aaa96edf142730f1d)"
	.section	".note.GNU-stack","",@progbits
	.addrsig
	.addrsig_sym __hip_cuid_51a26e27a061afb3
	.amdgpu_metadata
---
amdhsa.kernels:
  - .args:
      - .actual_access:  read_only
        .address_space:  global
        .offset:         0
        .size:           8
        .value_kind:     global_buffer
      - .actual_access:  read_only
        .address_space:  global
        .offset:         8
        .size:           8
        .value_kind:     global_buffer
      - .actual_access:  read_only
        .address_space:  global
        .offset:         16
        .size:           8
        .value_kind:     global_buffer
      - .actual_access:  read_only
        .address_space:  global
        .offset:         24
        .size:           8
        .value_kind:     global_buffer
      - .actual_access:  read_only
        .address_space:  global
        .offset:         32
        .size:           8
        .value_kind:     global_buffer
      - .offset:         40
        .size:           8
        .value_kind:     by_value
      - .address_space:  global
        .offset:         48
        .size:           8
        .value_kind:     global_buffer
      - .address_space:  global
        .offset:         56
        .size:           8
        .value_kind:     global_buffer
      - .address_space:  global
        .offset:         64
        .size:           8
        .value_kind:     global_buffer
      - .address_space:  global
        .offset:         72
        .size:           8
        .value_kind:     global_buffer
      - .offset:         80
        .size:           4
        .value_kind:     by_value
      - .address_space:  global
        .offset:         88
        .size:           8
        .value_kind:     global_buffer
      - .address_space:  global
        .offset:         96
        .size:           8
        .value_kind:     global_buffer
    .group_segment_fixed_size: 6912
    .kernarg_segment_align: 8
    .kernarg_segment_size: 104
    .language:       OpenCL C
    .language_version:
      - 2
      - 0
    .max_flat_workgroup_size: 54
    .name:           bluestein_single_back_len432_dim1_sp_op_CI_CI
    .private_segment_fixed_size: 0
    .sgpr_count:     20
    .sgpr_spill_count: 0
    .symbol:         bluestein_single_back_len432_dim1_sp_op_CI_CI.kd
    .uniform_work_group_size: 1
    .uses_dynamic_stack: false
    .vgpr_count:     214
    .vgpr_spill_count: 0
    .wavefront_size: 32
    .workgroup_processor_mode: 1
amdhsa.target:   amdgcn-amd-amdhsa--gfx1030
amdhsa.version:
  - 1
  - 2
...

	.end_amdgpu_metadata
